;; amdgpu-corpus repo=ROCm/rocFFT kind=compiled arch=gfx950 opt=O3
	.text
	.amdgcn_target "amdgcn-amd-amdhsa--gfx950"
	.amdhsa_code_object_version 6
	.protected	fft_rtc_back_len1700_factors_17_10_10_wgs_170_tpt_170_halfLds_sp_ip_CI_unitstride_sbrr_C2R_dirReg ; -- Begin function fft_rtc_back_len1700_factors_17_10_10_wgs_170_tpt_170_halfLds_sp_ip_CI_unitstride_sbrr_C2R_dirReg
	.globl	fft_rtc_back_len1700_factors_17_10_10_wgs_170_tpt_170_halfLds_sp_ip_CI_unitstride_sbrr_C2R_dirReg
	.p2align	8
	.type	fft_rtc_back_len1700_factors_17_10_10_wgs_170_tpt_170_halfLds_sp_ip_CI_unitstride_sbrr_C2R_dirReg,@function
fft_rtc_back_len1700_factors_17_10_10_wgs_170_tpt_170_halfLds_sp_ip_CI_unitstride_sbrr_C2R_dirReg: ; @fft_rtc_back_len1700_factors_17_10_10_wgs_170_tpt_170_halfLds_sp_ip_CI_unitstride_sbrr_C2R_dirReg
; %bb.0:
	s_load_dwordx2 s[8:9], s[0:1], 0x50
	s_load_dwordx4 s[4:7], s[0:1], 0x0
	s_load_dwordx2 s[10:11], s[0:1], 0x18
	v_mul_u32_u24_e32 v1, 0x182, v0
	v_add_u32_sdwa v6, s2, v1 dst_sel:DWORD dst_unused:UNUSED_PAD src0_sel:DWORD src1_sel:WORD_1
	v_mov_b32_e32 v4, 0
	s_waitcnt lgkmcnt(0)
	v_cmp_lt_u64_e64 s[2:3], s[6:7], 2
	v_mov_b32_e32 v7, v4
	s_and_b64 vcc, exec, s[2:3]
	v_mov_b64_e32 v[2:3], 0
	s_cbranch_vccnz .LBB0_8
; %bb.1:
	s_load_dwordx2 s[2:3], s[0:1], 0x10
	s_add_u32 s12, s10, 8
	s_addc_u32 s13, s11, 0
	s_mov_b64 s[14:15], 1
	v_mov_b64_e32 v[2:3], 0
	s_waitcnt lgkmcnt(0)
	s_add_u32 s16, s2, 8
	s_addc_u32 s17, s3, 0
.LBB0_2:                                ; =>This Inner Loop Header: Depth=1
	s_load_dwordx2 s[18:19], s[16:17], 0x0
                                        ; implicit-def: $vgpr8_vgpr9
	s_waitcnt lgkmcnt(0)
	v_or_b32_e32 v5, s19, v7
	v_cmp_ne_u64_e32 vcc, 0, v[4:5]
	s_and_saveexec_b64 s[2:3], vcc
	s_xor_b64 s[20:21], exec, s[2:3]
	s_cbranch_execz .LBB0_4
; %bb.3:                                ;   in Loop: Header=BB0_2 Depth=1
	v_cvt_f32_u32_e32 v1, s18
	v_cvt_f32_u32_e32 v5, s19
	s_sub_u32 s2, 0, s18
	s_subb_u32 s3, 0, s19
	v_fmac_f32_e32 v1, 0x4f800000, v5
	v_rcp_f32_e32 v1, v1
	s_nop 0
	v_mul_f32_e32 v1, 0x5f7ffffc, v1
	v_mul_f32_e32 v5, 0x2f800000, v1
	v_trunc_f32_e32 v5, v5
	v_fmac_f32_e32 v1, 0xcf800000, v5
	v_cvt_u32_f32_e32 v5, v5
	v_cvt_u32_f32_e32 v1, v1
	v_mul_lo_u32 v8, s2, v5
	v_mul_hi_u32 v10, s2, v1
	v_mul_lo_u32 v9, s3, v1
	v_add_u32_e32 v10, v10, v8
	v_mul_lo_u32 v12, s2, v1
	v_add_u32_e32 v13, v10, v9
	v_mul_hi_u32 v8, v1, v12
	v_mul_hi_u32 v11, v1, v13
	v_mul_lo_u32 v10, v1, v13
	v_mov_b32_e32 v9, v4
	v_lshl_add_u64 v[8:9], v[8:9], 0, v[10:11]
	v_mul_hi_u32 v11, v5, v12
	v_mul_lo_u32 v12, v5, v12
	v_add_co_u32_e32 v8, vcc, v8, v12
	v_mul_hi_u32 v10, v5, v13
	s_nop 0
	v_addc_co_u32_e32 v8, vcc, v9, v11, vcc
	v_mov_b32_e32 v9, v4
	s_nop 0
	v_addc_co_u32_e32 v11, vcc, 0, v10, vcc
	v_mul_lo_u32 v10, v5, v13
	v_lshl_add_u64 v[8:9], v[8:9], 0, v[10:11]
	v_add_co_u32_e32 v1, vcc, v1, v8
	v_mul_lo_u32 v10, s2, v1
	s_nop 0
	v_addc_co_u32_e32 v5, vcc, v5, v9, vcc
	v_mul_lo_u32 v8, s2, v5
	v_mul_hi_u32 v9, s2, v1
	v_add_u32_e32 v8, v9, v8
	v_mul_lo_u32 v9, s3, v1
	v_add_u32_e32 v12, v8, v9
	v_mul_hi_u32 v14, v5, v10
	v_mul_lo_u32 v15, v5, v10
	v_mul_hi_u32 v9, v1, v12
	v_mul_lo_u32 v8, v1, v12
	v_mul_hi_u32 v10, v1, v10
	v_mov_b32_e32 v11, v4
	v_lshl_add_u64 v[8:9], v[10:11], 0, v[8:9]
	v_add_co_u32_e32 v8, vcc, v8, v15
	v_mul_hi_u32 v13, v5, v12
	s_nop 0
	v_addc_co_u32_e32 v8, vcc, v9, v14, vcc
	v_mul_lo_u32 v10, v5, v12
	s_nop 0
	v_addc_co_u32_e32 v11, vcc, 0, v13, vcc
	v_mov_b32_e32 v9, v4
	v_lshl_add_u64 v[8:9], v[8:9], 0, v[10:11]
	v_add_co_u32_e32 v1, vcc, v1, v8
	v_mul_hi_u32 v10, v6, v1
	s_nop 0
	v_addc_co_u32_e32 v5, vcc, v5, v9, vcc
	v_mad_u64_u32 v[8:9], s[2:3], v6, v5, 0
	v_mov_b32_e32 v11, v4
	v_lshl_add_u64 v[8:9], v[10:11], 0, v[8:9]
	v_mad_u64_u32 v[12:13], s[2:3], v7, v1, 0
	v_add_co_u32_e32 v1, vcc, v8, v12
	v_mad_u64_u32 v[10:11], s[2:3], v7, v5, 0
	s_nop 0
	v_addc_co_u32_e32 v8, vcc, v9, v13, vcc
	v_mov_b32_e32 v9, v4
	s_nop 0
	v_addc_co_u32_e32 v11, vcc, 0, v11, vcc
	v_lshl_add_u64 v[8:9], v[8:9], 0, v[10:11]
	v_mul_lo_u32 v1, s19, v8
	v_mul_lo_u32 v5, s18, v9
	v_mad_u64_u32 v[10:11], s[2:3], s18, v8, 0
	v_add3_u32 v1, v11, v5, v1
	v_sub_u32_e32 v5, v7, v1
	v_mov_b32_e32 v11, s19
	v_sub_co_u32_e32 v14, vcc, v6, v10
	v_lshl_add_u64 v[12:13], v[8:9], 0, 1
	s_nop 0
	v_subb_co_u32_e64 v5, s[2:3], v5, v11, vcc
	v_subrev_co_u32_e64 v10, s[2:3], s18, v14
	v_subb_co_u32_e32 v1, vcc, v7, v1, vcc
	s_nop 0
	v_subbrev_co_u32_e64 v5, s[2:3], 0, v5, s[2:3]
	v_cmp_le_u32_e64 s[2:3], s19, v5
	v_cmp_le_u32_e32 vcc, s19, v1
	s_nop 0
	v_cndmask_b32_e64 v11, 0, -1, s[2:3]
	v_cmp_le_u32_e64 s[2:3], s18, v10
	s_nop 1
	v_cndmask_b32_e64 v10, 0, -1, s[2:3]
	v_cmp_eq_u32_e64 s[2:3], s19, v5
	s_nop 1
	v_cndmask_b32_e64 v5, v11, v10, s[2:3]
	v_lshl_add_u64 v[10:11], v[8:9], 0, 2
	v_cmp_ne_u32_e64 s[2:3], 0, v5
	s_nop 1
	v_cndmask_b32_e64 v5, v13, v11, s[2:3]
	v_cndmask_b32_e64 v11, 0, -1, vcc
	v_cmp_le_u32_e32 vcc, s18, v14
	s_nop 1
	v_cndmask_b32_e64 v13, 0, -1, vcc
	v_cmp_eq_u32_e32 vcc, s19, v1
	s_nop 1
	v_cndmask_b32_e32 v1, v11, v13, vcc
	v_cmp_ne_u32_e32 vcc, 0, v1
	v_cndmask_b32_e64 v1, v12, v10, s[2:3]
	s_nop 0
	v_cndmask_b32_e32 v9, v9, v5, vcc
	v_cndmask_b32_e32 v8, v8, v1, vcc
.LBB0_4:                                ;   in Loop: Header=BB0_2 Depth=1
	s_andn2_saveexec_b64 s[2:3], s[20:21]
	s_cbranch_execz .LBB0_6
; %bb.5:                                ;   in Loop: Header=BB0_2 Depth=1
	v_cvt_f32_u32_e32 v1, s18
	s_sub_i32 s20, 0, s18
	v_rcp_iflag_f32_e32 v1, v1
	s_nop 0
	v_mul_f32_e32 v1, 0x4f7ffffe, v1
	v_cvt_u32_f32_e32 v1, v1
	v_mul_lo_u32 v5, s20, v1
	v_mul_hi_u32 v5, v1, v5
	v_add_u32_e32 v1, v1, v5
	v_mul_hi_u32 v1, v6, v1
	v_mul_lo_u32 v5, v1, s18
	v_sub_u32_e32 v5, v6, v5
	v_add_u32_e32 v8, 1, v1
	v_subrev_u32_e32 v9, s18, v5
	v_cmp_le_u32_e32 vcc, s18, v5
	s_nop 1
	v_cndmask_b32_e32 v5, v5, v9, vcc
	v_cndmask_b32_e32 v1, v1, v8, vcc
	v_add_u32_e32 v8, 1, v1
	v_cmp_le_u32_e32 vcc, s18, v5
	v_mov_b32_e32 v9, v4
	s_nop 0
	v_cndmask_b32_e32 v8, v1, v8, vcc
.LBB0_6:                                ;   in Loop: Header=BB0_2 Depth=1
	s_or_b64 exec, exec, s[2:3]
	v_mad_u64_u32 v[10:11], s[2:3], v8, s18, 0
	s_load_dwordx2 s[2:3], s[12:13], 0x0
	v_mul_lo_u32 v1, v9, s18
	v_mul_lo_u32 v5, v8, s19
	v_add3_u32 v1, v11, v5, v1
	v_sub_co_u32_e32 v5, vcc, v6, v10
	s_add_u32 s14, s14, 1
	s_nop 0
	v_subb_co_u32_e32 v1, vcc, v7, v1, vcc
	s_addc_u32 s15, s15, 0
	s_waitcnt lgkmcnt(0)
	v_mul_lo_u32 v1, s2, v1
	v_mul_lo_u32 v6, s3, v5
	v_mad_u64_u32 v[2:3], s[2:3], s2, v5, v[2:3]
	s_add_u32 s12, s12, 8
	v_add3_u32 v3, v6, v3, v1
	s_addc_u32 s13, s13, 0
	v_mov_b64_e32 v[6:7], s[6:7]
	s_add_u32 s16, s16, 8
	v_cmp_ge_u64_e32 vcc, s[14:15], v[6:7]
	s_addc_u32 s17, s17, 0
	s_cbranch_vccnz .LBB0_9
; %bb.7:                                ;   in Loop: Header=BB0_2 Depth=1
	v_mov_b64_e32 v[6:7], v[8:9]
	s_branch .LBB0_2
.LBB0_8:
	v_mov_b64_e32 v[8:9], v[6:7]
.LBB0_9:
	s_lshl_b64 s[2:3], s[6:7], 3
	s_add_u32 s2, s10, s2
	s_addc_u32 s3, s11, s3
	s_load_dwordx2 s[6:7], s[2:3], 0x0
	s_load_dwordx2 s[10:11], s[0:1], 0x20
	s_mov_b32 s2, 0x1818182
	s_waitcnt lgkmcnt(0)
	v_mul_lo_u32 v1, s6, v9
	v_mul_lo_u32 v4, s7, v8
	v_mad_u64_u32 v[2:3], s[0:1], s6, v8, v[2:3]
	v_add3_u32 v3, v4, v3, v1
	v_mul_hi_u32 v1, v0, s2
	v_mul_u32_u24_e32 v1, 0xaa, v1
	v_cmp_gt_u64_e64 s[0:1], s[10:11], v[8:9]
	v_sub_u32_e32 v32, v0, v1
	v_lshl_add_u64 v[216:217], v[2:3], 3, s[8:9]
	s_and_saveexec_b64 s[2:3], s[0:1]
	s_cbranch_execz .LBB0_13
; %bb.10:
	v_mov_b32_e32 v33, 0
	v_lshl_add_u64 v[0:1], v[32:33], 3, v[216:217]
	v_add_co_u32_e32 v10, vcc, 0x1000, v0
	global_load_dwordx2 v[2:3], v[0:1], off
	global_load_dwordx2 v[4:5], v[0:1], off offset:1360
	global_load_dwordx2 v[6:7], v[0:1], off offset:2720
	;; [unrolled: 1-line block ×3, first 2 shown]
	v_addc_co_u32_e32 v11, vcc, 0, v1, vcc
	v_add_co_u32_e32 v0, vcc, 0x2000, v0
	s_movk_i32 s6, 0xa9
	s_nop 0
	v_addc_co_u32_e32 v1, vcc, 0, v1, vcc
	global_load_dwordx2 v[12:13], v[10:11], off offset:1344
	global_load_dwordx2 v[14:15], v[10:11], off offset:2704
	;; [unrolled: 1-line block ×6, first 2 shown]
	v_lshl_add_u32 v0, v32, 3, 0
	v_cmp_eq_u32_e32 vcc, s6, v32
	v_add_u32_e32 v1, 0x800, v0
	v_add_u32_e32 v10, 0x1400, v0
	;; [unrolled: 1-line block ×4, first 2 shown]
	s_waitcnt vmcnt(8)
	ds_write2_b64 v0, v[2:3], v[4:5] offset1:170
	s_waitcnt vmcnt(6)
	ds_write2_b64 v1, v[6:7], v[8:9] offset0:84 offset1:254
	s_waitcnt vmcnt(4)
	ds_write2_b64 v10, v[12:13], v[14:15] offset0:40 offset1:210
	;; [unrolled: 2-line block ×4, first 2 shown]
	s_and_saveexec_b64 s[6:7], vcc
	s_cbranch_execz .LBB0_12
; %bb.11:
	v_add_co_u32_e32 v0, vcc, 0x3000, v216
	v_mov_b32_e32 v32, 0xa9
	s_nop 0
	v_addc_co_u32_e32 v1, vcc, 0, v217, vcc
	global_load_dwordx2 v[0:1], v[0:1], off offset:1312
	s_waitcnt vmcnt(0)
	ds_write_b64 v33, v[0:1] offset:13600
.LBB0_12:
	s_or_b64 exec, exec, s[6:7]
.LBB0_13:
	s_or_b64 exec, exec, s[2:3]
	v_lshlrev_b32_e32 v0, 3, v32
	v_add_u32_e32 v198, 0, v0
	s_waitcnt lgkmcnt(0)
	s_barrier
	v_sub_u32_e32 v4, 0, v0
	ds_read_b32 v1, v198
	ds_read_b32 v2, v4 offset:13600
	s_add_u32 s2, s4, 0x3498
	s_addc_u32 s3, s5, 0
	v_cmp_ne_u32_e32 vcc, 0, v32
	s_waitcnt lgkmcnt(0)
	v_add_f32_e32 v0, v2, v1
	v_sub_f32_e32 v1, v1, v2
                                        ; implicit-def: $vgpr2_vgpr3
	s_and_saveexec_b64 s[6:7], vcc
	s_xor_b64 s[6:7], exec, s[6:7]
	s_cbranch_execz .LBB0_15
; %bb.14:
	v_mov_b32_e32 v33, 0
	v_lshl_add_u64 v[2:3], v[32:33], 3, s[2:3]
	global_load_dwordx2 v[6:7], v[2:3], off
	ds_read_b32 v5, v4 offset:13604
	ds_read_b32 v11, v198 offset:4
	v_mov_b32_e32 v8, v1
	v_mov_b32_e32 v10, v0
	;; [unrolled: 1-line block ×3, first 2 shown]
	v_mov_b64_e32 v[2:3], v[32:33]
	s_waitcnt lgkmcnt(0)
	v_add_f32_e32 v9, v5, v11
	v_sub_f32_e32 v11, v11, v5
	v_mov_b32_e32 v12, v9
	s_waitcnt vmcnt(0)
	v_pk_mul_f32 v[14:15], v[8:9], v[6:7] op_sel:[0,1]
	v_pk_fma_f32 v[8:9], v[8:9], v[6:7], v[10:11] op_sel:[0,1,0]
	v_mov_b32_e32 v1, v15
	v_mov_b32_e32 v15, v11
	v_pk_fma_f32 v[16:17], v[6:7], v[12:13], v[8:9] neg_lo:[1,0,0] neg_hi:[1,0,0]
	v_pk_fma_f32 v[8:9], v[6:7], v[12:13], v[8:9] op_sel_hi:[0,1,1]
	v_pk_add_f32 v[0:1], v[0:1], v[14:15] neg_lo:[0,1] neg_hi:[0,1]
	v_mov_b32_e32 v17, v9
	v_pk_fma_f32 v[0:1], v[6:7], v[12:13], v[0:1] op_sel_hi:[0,1,1]
	ds_write_b64 v4, v[0:1] offset:13600
	v_mov_b64_e32 v[0:1], v[16:17]
.LBB0_15:
	s_andn2_saveexec_b64 s[6:7], s[6:7]
	s_cbranch_execz .LBB0_17
; %bb.16:
	v_mov_b32_e32 v5, 0
	ds_read_b64 v[2:3], v5 offset:6800
	s_mov_b32 s8, 2.0
	s_mov_b32 s9, -2.0
	s_waitcnt lgkmcnt(0)
	v_pk_mul_f32 v[2:3], v[2:3], s[8:9]
	ds_write_b64 v5, v[2:3] offset:6800
	v_mov_b64_e32 v[2:3], 0
.LBB0_17:
	s_or_b64 exec, exec, s[6:7]
	v_lshl_add_u64 v[2:3], v[2:3], 3, s[2:3]
	global_load_dwordx2 v[6:7], v[2:3], off offset:1360
	global_load_dwordx2 v[8:9], v[2:3], off offset:2720
	;; [unrolled: 1-line block ×3, first 2 shown]
	s_movk_i32 s2, 0x1000
	v_add_co_u32_e32 v2, vcc, s2, v2
	ds_write_b64 v198, v[0:1]
	s_nop 0
	v_addc_co_u32_e32 v3, vcc, 0, v3, vcc
	global_load_dwordx2 v[2:3], v[2:3], off offset:1344
	ds_read_b64 v[0:1], v4 offset:12240
	ds_read_b64 v[12:13], v198 offset:1360
	v_add_u32_e32 v5, 0x400, v198
	v_add_u32_e32 v24, 0x1000, v198
	;; [unrolled: 1-line block ×4, first 2 shown]
	s_waitcnt lgkmcnt(0)
	v_pk_add_f32 v[14:15], v[12:13], v[0:1]
	v_pk_add_f32 v[0:1], v[12:13], v[0:1] neg_lo:[0,1] neg_hi:[0,1]
	v_mov_b32_e32 v12, v15
	v_mov_b32_e32 v13, v0
	;; [unrolled: 1-line block ×3, first 2 shown]
	v_add_u32_e32 v199, 0x2800, v198
	s_movk_i32 s2, 0x64
	v_cmp_gt_u32_e32 vcc, s2, v32
	s_waitcnt vmcnt(3)
	v_pk_mul_f32 v[16:17], v[12:13], v[6:7] op_sel:[0,1]
	s_nop 0
	v_pk_add_f32 v[18:19], v[14:15], v[16:17] op_sel:[0,1] op_sel_hi:[1,0]
	v_mov_b32_e32 v15, v16
	v_mov_b32_e32 v0, v17
	v_pk_fma_f32 v[16:17], v[6:7], v[12:13], v[18:19] neg_lo:[1,0,0] neg_hi:[1,0,0]
	v_pk_fma_f32 v[18:19], v[6:7], v[12:13], v[18:19] op_sel_hi:[0,1,1]
	v_pk_add_f32 v[0:1], v[14:15], v[0:1] neg_lo:[0,1] neg_hi:[0,1]
	v_mov_b32_e32 v17, v19
	v_pk_fma_f32 v[0:1], v[6:7], v[12:13], v[0:1] op_sel_hi:[0,1,1]
	ds_write_b64 v198, v[16:17] offset:1360
	ds_write_b64 v4, v[0:1] offset:12240
	ds_read_b64 v[0:1], v4 offset:10880
	ds_read_b64 v[6:7], v198 offset:2720
	s_waitcnt lgkmcnt(0)
	v_pk_add_f32 v[12:13], v[6:7], v[0:1]
	v_pk_add_f32 v[0:1], v[6:7], v[0:1] neg_lo:[0,1] neg_hi:[0,1]
	v_mov_b32_e32 v6, v13
	v_mov_b32_e32 v7, v0
	;; [unrolled: 1-line block ×3, first 2 shown]
	s_waitcnt vmcnt(2)
	v_pk_mul_f32 v[14:15], v[6:7], v[8:9] op_sel:[0,1]
	s_nop 0
	v_pk_add_f32 v[16:17], v[12:13], v[14:15] op_sel:[0,1] op_sel_hi:[1,0]
	v_mov_b32_e32 v13, v14
	v_mov_b32_e32 v0, v15
	v_pk_fma_f32 v[14:15], v[8:9], v[6:7], v[16:17] neg_lo:[1,0,0] neg_hi:[1,0,0]
	v_pk_fma_f32 v[16:17], v[8:9], v[6:7], v[16:17] op_sel_hi:[0,1,1]
	v_pk_add_f32 v[0:1], v[12:13], v[0:1] neg_lo:[0,1] neg_hi:[0,1]
	v_mov_b32_e32 v15, v17
	v_pk_fma_f32 v[0:1], v[8:9], v[6:7], v[0:1] op_sel_hi:[0,1,1]
	ds_write_b64 v198, v[14:15] offset:2720
	ds_write_b64 v4, v[0:1] offset:10880
	ds_read_b64 v[0:1], v4 offset:9520
	ds_read_b64 v[6:7], v198 offset:4080
	s_waitcnt lgkmcnt(0)
	v_pk_add_f32 v[8:9], v[6:7], v[0:1]
	v_pk_add_f32 v[0:1], v[6:7], v[0:1] neg_lo:[0,1] neg_hi:[0,1]
	v_mov_b32_e32 v6, v9
	v_mov_b32_e32 v7, v0
	;; [unrolled: 1-line block ×3, first 2 shown]
	s_waitcnt vmcnt(1)
	v_pk_mul_f32 v[12:13], v[6:7], v[10:11] op_sel:[0,1]
	s_nop 0
	v_pk_add_f32 v[14:15], v[8:9], v[12:13] op_sel:[0,1] op_sel_hi:[1,0]
	v_mov_b32_e32 v9, v12
	v_mov_b32_e32 v0, v13
	v_pk_fma_f32 v[12:13], v[10:11], v[6:7], v[14:15] neg_lo:[1,0,0] neg_hi:[1,0,0]
	v_pk_fma_f32 v[14:15], v[10:11], v[6:7], v[14:15] op_sel_hi:[0,1,1]
	v_pk_add_f32 v[0:1], v[8:9], v[0:1] neg_lo:[0,1] neg_hi:[0,1]
	v_mov_b32_e32 v13, v15
	v_pk_fma_f32 v[0:1], v[10:11], v[6:7], v[0:1] op_sel_hi:[0,1,1]
	ds_write_b64 v198, v[12:13] offset:4080
	ds_write_b64 v4, v[0:1] offset:9520
	ds_read_b64 v[0:1], v4 offset:8160
	ds_read_b64 v[6:7], v198 offset:5440
	v_add_u32_e32 v14, 0x1800, v198
	v_add_u32_e32 v15, 0x1c00, v198
	s_waitcnt lgkmcnt(0)
	v_pk_add_f32 v[8:9], v[6:7], v[0:1]
	v_pk_add_f32 v[0:1], v[6:7], v[0:1] neg_lo:[0,1] neg_hi:[0,1]
	v_mov_b32_e32 v6, v9
	v_mov_b32_e32 v7, v0
	;; [unrolled: 1-line block ×3, first 2 shown]
	s_waitcnt vmcnt(0)
	v_pk_mul_f32 v[10:11], v[6:7], v[2:3] op_sel:[0,1]
	s_nop 0
	v_pk_add_f32 v[12:13], v[8:9], v[10:11] op_sel:[0,1] op_sel_hi:[1,0]
	v_mov_b32_e32 v9, v10
	v_mov_b32_e32 v0, v11
	v_pk_fma_f32 v[10:11], v[2:3], v[6:7], v[12:13] neg_lo:[1,0,0] neg_hi:[1,0,0]
	v_pk_fma_f32 v[12:13], v[2:3], v[6:7], v[12:13] op_sel_hi:[0,1,1]
	v_pk_add_f32 v[0:1], v[8:9], v[0:1] neg_lo:[0,1] neg_hi:[0,1]
	v_mov_b32_e32 v11, v13
	v_pk_fma_f32 v[0:1], v[2:3], v[6:7], v[0:1] op_sel_hi:[0,1,1]
	ds_write_b64 v198, v[10:11] offset:5440
	ds_write_b64 v4, v[0:1] offset:8160
	s_waitcnt lgkmcnt(0)
	s_barrier
	s_barrier
	ds_read2_b64 v[0:3], v198 offset1:100
	ds_read2_b64 v[20:23], v5 offset0:72 offset1:172
	ds_read2_b64 v[16:19], v33 offset0:144 offset1:244
	;; [unrolled: 1-line block ×7, first 2 shown]
	ds_read_b64 v[36:37], v198 offset:12800
	s_waitcnt lgkmcnt(0)
	s_barrier
	s_and_saveexec_b64 s[2:3], vcc
	s_cbranch_execz .LBB0_19
; %bb.18:
	v_pk_add_f32 v[38:39], v[0:1], v[2:3]
	v_pk_add_f32 v[132:133], v[2:3], v[36:37] neg_lo:[0,1] neg_hi:[0,1]
	v_pk_add_f32 v[38:39], v[38:39], v[20:21]
	s_mov_b32 s22, 0xbeb8f4ab
	v_pk_add_f32 v[38:39], v[38:39], v[22:23]
	v_pk_add_f32 v[130:131], v[36:37], v[2:3]
	v_pk_add_f32 v[38:39], v[38:39], v[16:17]
	v_pk_add_f32 v[128:129], v[20:21], v[30:31] neg_lo:[0,1] neg_hi:[0,1]
	v_pk_add_f32 v[38:39], v[38:39], v[18:19]
	v_pk_add_f32 v[82:83], v[6:7], v[4:5]
	;; [unrolled: 1-line block ×3, first 2 shown]
	v_pk_add_f32 v[88:89], v[4:5], v[6:7] neg_lo:[0,1] neg_hi:[0,1]
	v_pk_add_f32 v[38:39], v[38:39], v[10:11]
	s_mov_b32 s12, 0x3f6eb680
	v_pk_add_f32 v[38:39], v[38:39], v[4:5]
	v_pk_mul_f32 v[4:5], v[132:133], s[22:23] op_sel_hi:[1,0]
	s_mov_b32 s36, 0xbf2c7751
	v_pk_add_f32 v[38:39], v[38:39], v[6:7]
	v_pk_add_f32 v[126:127], v[30:31], v[20:21]
	;; [unrolled: 1-line block ×3, first 2 shown]
	v_pk_add_f32 v[104:105], v[8:9], v[14:15] neg_lo:[0,1] neg_hi:[0,1]
	v_pk_fma_f32 v[2:3], v[130:131], s[12:13], v[4:5] op_sel:[0,0,1] op_sel_hi:[1,0,0]
	v_pk_fma_f32 v[4:5], v[130:131], s[12:13], v[4:5] op_sel:[0,0,1] op_sel_hi:[1,0,0] neg_lo:[0,0,1] neg_hi:[0,0,1]
	s_mov_b32 s10, 0x3f3d2fb0
	v_pk_mul_f32 v[8:9], v[128:129], s[36:37] op_sel_hi:[1,0]
	v_pk_add_f32 v[38:39], v[38:39], v[12:13]
	v_pk_add_f32 v[90:91], v[12:13], v[10:11]
	v_pk_add_f32 v[92:93], v[10:11], v[12:13] neg_lo:[0,1] neg_hi:[0,1]
	v_mov_b32_e32 v6, v2
	v_mov_b32_e32 v7, v5
	v_pk_fma_f32 v[12:13], v[126:127], s[10:11], v[8:9] op_sel:[0,0,1] op_sel_hi:[1,0,0]
	v_pk_fma_f32 v[8:9], v[126:127], s[10:11], v[8:9] op_sel:[0,0,1] op_sel_hi:[1,0,0] neg_lo:[0,0,1] neg_hi:[0,0,1]
	v_pk_add_f32 v[124:125], v[22:23], v[28:29] neg_lo:[0,1] neg_hi:[0,1]
	v_pk_add_f32 v[10:11], v[0:1], v[6:7]
	v_accvgpr_write_b32 a1, v13
	v_mov_b32_e32 v13, v9
	s_mov_b32 s44, 0xbf65296c
	v_pk_add_f32 v[38:39], v[38:39], v[14:15]
	v_pk_add_f32 v[122:123], v[28:29], v[22:23]
	;; [unrolled: 1-line block ×3, first 2 shown]
	s_mov_b32 s8, 0x3ee437d1
	v_pk_mul_f32 v[12:13], v[124:125], s[44:45] op_sel_hi:[1,0]
	v_pk_add_f32 v[114:115], v[26:27], v[16:17]
	v_pk_add_f32 v[120:121], v[16:17], v[26:27] neg_lo:[0,1] neg_hi:[0,1]
	v_pk_fma_f32 v[16:17], v[122:123], s[8:9], v[12:13] op_sel:[0,0,1] op_sel_hi:[1,0,0]
	v_pk_fma_f32 v[12:13], v[122:123], s[8:9], v[12:13] op_sel:[0,0,1] op_sel_hi:[1,0,0] neg_lo:[0,0,1] neg_hi:[0,0,1]
	v_accvgpr_write_b32 a3, v17
	v_mov_b32_e32 v17, v13
	s_mov_b32 s34, 0xbf7ee86f
	v_pk_add_f32 v[106:107], v[24:25], v[18:19]
	v_pk_add_f32 v[112:113], v[18:19], v[24:25] neg_lo:[0,1] neg_hi:[0,1]
	v_pk_add_f32 v[18:19], v[16:17], v[14:15]
	s_mov_b32 s6, 0x3dbcf732
	v_pk_mul_f32 v[16:17], v[120:121], s[34:35] op_sel_hi:[1,0]
	s_mov_b32 s16, 0xbf763a35
	v_pk_fma_f32 v[20:21], v[114:115], s[6:7], v[16:17] op_sel:[0,0,1] op_sel_hi:[1,0,0]
	v_pk_fma_f32 v[16:17], v[114:115], s[6:7], v[16:17] op_sel:[0,0,1] op_sel_hi:[1,0,0] neg_lo:[0,0,1] neg_hi:[0,0,1]
	v_accvgpr_write_b32 a5, v21
	v_mov_b32_e32 v21, v17
	v_pk_add_f32 v[22:23], v[20:21], v[18:19]
	s_mov_b32 s14, 0xbe8c1d8e
	v_pk_mul_f32 v[20:21], v[112:113], s[16:17] op_sel_hi:[1,0]
	v_pk_add_f32 v[38:39], v[38:39], v[24:25]
	v_pk_fma_f32 v[24:25], v[106:107], s[14:15], v[20:21] op_sel:[0,0,1] op_sel_hi:[1,0,0]
	v_pk_fma_f32 v[20:21], v[106:107], s[14:15], v[20:21] op_sel:[0,0,1] op_sel_hi:[1,0,0] neg_lo:[0,0,1] neg_hi:[0,0,1]
	v_accvgpr_write_b32 a7, v25
	v_mov_b32_e32 v25, v21
	s_mov_b32 s20, 0xbf4c4adb
	v_pk_add_f32 v[38:39], v[38:39], v[26:27]
	v_pk_add_f32 v[26:27], v[24:25], v[22:23]
	s_mov_b32 s18, 0xbf1a4643
	v_pk_mul_f32 v[24:25], v[104:105], s[20:21] op_sel_hi:[1,0]
	v_pk_add_f32 v[38:39], v[38:39], v[28:29]
	v_pk_fma_f32 v[28:29], v[98:99], s[18:19], v[24:25] op_sel:[0,0,1] op_sel_hi:[1,0,0]
	v_pk_fma_f32 v[24:25], v[98:99], s[18:19], v[24:25] op_sel:[0,0,1] op_sel_hi:[1,0,0] neg_lo:[0,0,1] neg_hi:[0,0,1]
	v_accvgpr_write_b32 a9, v29
	v_mov_b32_e32 v29, v25
	s_mov_b32 s26, 0xbf06c442
	v_pk_add_f32 v[38:39], v[38:39], v[30:31]
	;; [unrolled: 10-line block ×3, first 2 shown]
	s_mov_b32 s28, 0xbf7ba420
	v_pk_mul_f32 v[36:37], v[88:89], s[30:31] op_sel_hi:[1,0]
	v_lshl_add_u32 v2, v32, 7, v198
	v_pk_fma_f32 v[42:43], v[82:83], s[28:29], v[36:37] op_sel:[0,0,1] op_sel_hi:[1,0,0]
	v_pk_fma_f32 v[36:37], v[82:83], s[28:29], v[36:37] op_sel:[0,0,1] op_sel_hi:[1,0,0] neg_lo:[0,0,1] neg_hi:[0,0,1]
	v_accvgpr_write_b32 a13, v43
	v_mov_b32_e32 v43, v37
	v_pk_add_f32 v[40:41], v[42:43], v[40:41]
	ds_write2_b64 v2, v[38:39], v[40:41] offset1:1
	v_pk_mul_f32 v[38:39], v[132:133], s[36:37] op_sel_hi:[1,0]
	s_mov_b32 s48, 0x3f06c442
	v_pk_fma_f32 v[40:41], v[130:131], s[10:11], v[38:39] op_sel:[0,0,1] op_sel_hi:[1,0,0]
	v_pk_fma_f32 v[38:39], v[130:131], s[10:11], v[38:39] op_sel:[0,0,1] op_sel_hi:[1,0,0] neg_lo:[0,0,1] neg_hi:[0,0,1]
	v_mov_b32_e32 v42, v40
	v_mov_b32_e32 v43, v39
	v_pk_add_f32 v[46:47], v[0:1], v[42:43]
	v_pk_mul_f32 v[42:43], v[128:129], s[34:35] op_sel_hi:[1,0]
	s_mov_b32 s46, 0x3f763a35
	v_pk_fma_f32 v[30:31], v[126:127], s[6:7], v[42:43] op_sel:[0,0,1] op_sel_hi:[1,0,0]
	v_pk_fma_f32 v[42:43], v[126:127], s[6:7], v[42:43] op_sel:[0,0,1] op_sel_hi:[1,0,0] neg_lo:[0,0,1] neg_hi:[0,0,1]
	v_mov_b32_e32 v48, v30
	v_mov_b32_e32 v49, v43
	v_pk_add_f32 v[50:51], v[48:49], v[46:47]
	;; [unrolled: 7-line block ×6, first 2 shown]
	v_pk_mul_f32 v[64:65], v[92:93], s[38:39] op_sel_hi:[1,0]
	v_pk_mul_f32 v[206:207], v[128:129], s[46:47] op_sel_hi:[1,0]
	v_pk_fma_f32 v[62:63], v[90:91], s[8:9], v[64:65] op_sel:[0,0,1] op_sel_hi:[1,0,0]
	v_pk_fma_f32 v[64:65], v[90:91], s[8:9], v[64:65] op_sel:[0,0,1] op_sel_hi:[1,0,0] neg_lo:[0,0,1] neg_hi:[0,0,1]
	v_mov_b32_e32 v68, v62
	v_mov_b32_e32 v69, v65
	v_pk_add_f32 v[70:71], v[68:69], v[66:67]
	v_pk_mul_f32 v[68:69], v[88:89], s[40:41] op_sel_hi:[1,0]
	v_pk_fma_f32 v[14:15], v[126:127], s[14:15], v[206:207] op_sel:[0,0,1] op_sel_hi:[1,0,0]
	v_pk_fma_f32 v[66:67], v[82:83], s[12:13], v[68:69] op_sel:[0,0,1] op_sel_hi:[1,0,0]
	v_pk_fma_f32 v[68:69], v[82:83], s[12:13], v[68:69] op_sel:[0,0,1] op_sel_hi:[1,0,0] neg_lo:[0,0,1] neg_hi:[0,0,1]
	v_mov_b32_e32 v72, v66
	v_mov_b32_e32 v73, v69
	v_pk_add_f32 v[134:135], v[72:73], v[70:71]
	v_pk_mul_f32 v[70:71], v[132:133], s[44:45] op_sel_hi:[1,0]
	v_pk_fma_f32 v[206:207], v[126:127], s[14:15], v[206:207] op_sel:[0,0,1] op_sel_hi:[1,0,0] neg_lo:[0,0,1] neg_hi:[0,0,1]
	v_pk_fma_f32 v[72:73], v[130:131], s[8:9], v[70:71] op_sel:[0,0,1] op_sel_hi:[1,0,0]
	v_pk_fma_f32 v[70:71], v[130:131], s[8:9], v[70:71] op_sel:[0,0,1] op_sel_hi:[1,0,0] neg_lo:[0,0,1] neg_hi:[0,0,1]
	v_mov_b32_e32 v74, v72
	v_mov_b32_e32 v75, v71
	v_pk_add_f32 v[78:79], v[0:1], v[74:75]
	v_pk_mul_f32 v[74:75], v[128:129], s[20:21] op_sel_hi:[1,0]
	v_mov_b32_e32 v210, v14
	v_pk_fma_f32 v[26:27], v[126:127], s[18:19], v[74:75] op_sel:[0,0,1] op_sel_hi:[1,0,0]
	v_pk_fma_f32 v[74:75], v[126:127], s[18:19], v[74:75] op_sel:[0,0,1] op_sel_hi:[1,0,0] neg_lo:[0,0,1] neg_hi:[0,0,1]
	v_mov_b32_e32 v80, v26
	v_mov_b32_e32 v81, v75
	v_pk_add_f32 v[84:85], v[80:81], v[78:79]
	v_pk_mul_f32 v[80:81], v[124:125], s[42:43] op_sel_hi:[1,0]
	s_mov_b32 s42, 0x3f2c7751
	v_pk_fma_f32 v[78:79], v[122:123], s[28:29], v[80:81] op_sel:[0,0,1] op_sel_hi:[1,0,0]
	v_pk_fma_f32 v[80:81], v[122:123], s[28:29], v[80:81] op_sel:[0,0,1] op_sel_hi:[1,0,0] neg_lo:[0,0,1] neg_hi:[0,0,1]
	v_mov_b32_e32 v86, v78
	v_mov_b32_e32 v87, v81
	v_pk_add_f32 v[94:95], v[86:87], v[84:85]
	v_pk_mul_f32 v[86:87], v[120:121], s[46:47] op_sel_hi:[1,0]
	v_mov_b32_e32 v211, v207
	v_pk_fma_f32 v[84:85], v[114:115], s[14:15], v[86:87] op_sel:[0,0,1] op_sel_hi:[1,0,0]
	v_pk_fma_f32 v[86:87], v[114:115], s[14:15], v[86:87] op_sel:[0,0,1] op_sel_hi:[1,0,0] neg_lo:[0,0,1] neg_hi:[0,0,1]
	v_mov_b32_e32 v96, v84
	v_mov_b32_e32 v97, v87
	v_pk_add_f32 v[100:101], v[96:97], v[94:95]
	v_pk_mul_f32 v[96:97], v[112:113], s[42:43] op_sel_hi:[1,0]
	v_pk_mul_f32 v[240:241], v[128:129], s[38:39] op_sel_hi:[1,0]
	v_pk_fma_f32 v[94:95], v[106:107], s[10:11], v[96:97] op_sel:[0,0,1] op_sel_hi:[1,0,0]
	v_pk_fma_f32 v[96:97], v[106:107], s[10:11], v[96:97] op_sel:[0,0,1] op_sel_hi:[1,0,0] neg_lo:[0,0,1] neg_hi:[0,0,1]
	v_mov_b32_e32 v102, v94
	v_mov_b32_e32 v103, v97
	v_pk_add_f32 v[108:109], v[102:103], v[100:101]
	v_pk_mul_f32 v[102:103], v[104:105], s[22:23] op_sel_hi:[1,0]
	v_pk_fma_f32 v[242:243], v[126:127], s[8:9], v[240:241] op_sel:[0,0,1] op_sel_hi:[1,0,0]
	v_pk_fma_f32 v[100:101], v[98:99], s[12:13], v[102:103] op_sel:[0,0,1] op_sel_hi:[1,0,0]
	v_pk_fma_f32 v[102:103], v[98:99], s[12:13], v[102:103] op_sel:[0,0,1] op_sel_hi:[1,0,0] neg_lo:[0,0,1] neg_hi:[0,0,1]
	v_mov_b32_e32 v110, v100
	v_mov_b32_e32 v111, v103
	v_pk_add_f32 v[116:117], v[110:111], v[108:109]
	v_pk_mul_f32 v[110:111], v[92:93], s[34:35] op_sel_hi:[1,0]
	v_pk_fma_f32 v[240:241], v[126:127], s[8:9], v[240:241] op_sel:[0,0,1] op_sel_hi:[1,0,0] neg_lo:[0,0,1] neg_hi:[0,0,1]
	v_pk_fma_f32 v[108:109], v[90:91], s[6:7], v[110:111] op_sel:[0,0,1] op_sel_hi:[1,0,0]
	v_pk_fma_f32 v[110:111], v[90:91], s[6:7], v[110:111] op_sel:[0,0,1] op_sel_hi:[1,0,0] neg_lo:[0,0,1] neg_hi:[0,0,1]
	v_mov_b32_e32 v118, v108
	v_mov_b32_e32 v119, v111
	v_pk_add_f32 v[136:137], v[118:119], v[116:117]
	v_pk_mul_f32 v[118:119], v[88:89], s[26:27] op_sel_hi:[1,0]
	v_mov_b32_e32 v244, v242
	v_pk_fma_f32 v[116:117], v[82:83], s[24:25], v[118:119] op_sel:[0,0,1] op_sel_hi:[1,0,0]
	v_pk_fma_f32 v[118:119], v[82:83], s[24:25], v[118:119] op_sel:[0,0,1] op_sel_hi:[1,0,0] neg_lo:[0,0,1] neg_hi:[0,0,1]
	v_mov_b32_e32 v138, v116
	v_mov_b32_e32 v139, v119
	v_pk_add_f32 v[136:137], v[138:139], v[136:137]
	ds_write2_b64 v2, v[134:135], v[136:137] offset0:2 offset1:3
	v_pk_mul_f32 v[134:135], v[132:133], s[34:35] op_sel_hi:[1,0]
	v_mov_b32_e32 v245, v241
	v_pk_fma_f32 v[136:137], v[130:131], s[6:7], v[134:135] op_sel:[0,0,1] op_sel_hi:[1,0,0]
	v_pk_fma_f32 v[134:135], v[130:131], s[6:7], v[134:135] op_sel:[0,0,1] op_sel_hi:[1,0,0] neg_lo:[0,0,1] neg_hi:[0,0,1]
	v_mov_b32_e32 v138, v136
	v_mov_b32_e32 v139, v135
	v_pk_add_f32 v[142:143], v[0:1], v[138:139]
	v_pk_mul_f32 v[138:139], v[128:129], s[30:31] op_sel_hi:[1,0]
	v_mov_b32_e32 v241, v243
	v_pk_fma_f32 v[22:23], v[126:127], s[28:29], v[138:139] op_sel:[0,0,1] op_sel_hi:[1,0,0]
	v_pk_fma_f32 v[138:139], v[126:127], s[28:29], v[138:139] op_sel:[0,0,1] op_sel_hi:[1,0,0] neg_lo:[0,0,1] neg_hi:[0,0,1]
	v_mov_b32_e32 v144, v22
	v_mov_b32_e32 v145, v139
	v_pk_add_f32 v[146:147], v[144:145], v[142:143]
	;; [unrolled: 7-line block ×9, first 2 shown]
	v_pk_mul_f32 v[170:171], v[128:129], s[48:49] op_sel_hi:[1,0]
	v_pk_mul_f32 v[128:129], v[128:129], s[40:41] op_sel_hi:[1,0]
	v_pk_fma_f32 v[18:19], v[126:127], s[24:25], v[170:171] op_sel:[0,0,1] op_sel_hi:[1,0,0]
	v_pk_fma_f32 v[170:171], v[126:127], s[24:25], v[170:171] op_sel:[0,0,1] op_sel_hi:[1,0,0] neg_lo:[0,0,1] neg_hi:[0,0,1]
	v_mov_b32_e32 v176, v18
	v_mov_b32_e32 v177, v171
	v_pk_add_f32 v[178:179], v[176:177], v[174:175]
	v_pk_mul_f32 v[176:177], v[124:125], s[42:43] op_sel_hi:[1,0]
	v_mov_b32_e32 v167, v169
	v_pk_fma_f32 v[174:175], v[122:123], s[10:11], v[176:177] op_sel:[0,0,1] op_sel_hi:[1,0,0]
	v_pk_fma_f32 v[176:177], v[122:123], s[10:11], v[176:177] op_sel:[0,0,1] op_sel_hi:[1,0,0] neg_lo:[0,0,1] neg_hi:[0,0,1]
	v_mov_b32_e32 v180, v174
	v_mov_b32_e32 v181, v177
	v_pk_add_f32 v[182:183], v[180:181], v[178:179]
	v_pk_mul_f32 v[180:181], v[120:121], s[44:45] op_sel_hi:[1,0]
	s_mov_b32 s44, 0x3f7ee86f
	v_pk_fma_f32 v[178:179], v[114:115], s[8:9], v[180:181] op_sel:[0,0,1] op_sel_hi:[1,0,0]
	v_pk_fma_f32 v[180:181], v[114:115], s[8:9], v[180:181] op_sel:[0,0,1] op_sel_hi:[1,0,0] neg_lo:[0,0,1] neg_hi:[0,0,1]
	v_mov_b32_e32 v184, v178
	v_mov_b32_e32 v185, v181
	v_pk_add_f32 v[186:187], v[184:185], v[182:183]
	v_pk_mul_f32 v[184:185], v[112:113], s[30:31] op_sel_hi:[1,0]
	v_mov_b32_e32 v171, v19
	v_pk_fma_f32 v[182:183], v[106:107], s[28:29], v[184:185] op_sel:[0,0,1] op_sel_hi:[1,0,0]
	v_pk_fma_f32 v[184:185], v[106:107], s[28:29], v[184:185] op_sel:[0,0,1] op_sel_hi:[1,0,0] neg_lo:[0,0,1] neg_hi:[0,0,1]
	v_mov_b32_e32 v188, v182
	v_mov_b32_e32 v189, v185
	v_pk_add_f32 v[190:191], v[188:189], v[186:187]
	v_pk_mul_f32 v[188:189], v[104:105], s[44:45] op_sel_hi:[1,0]
	v_mov_b32_e32 v177, v175
	;; [unrolled: 7-line block ×4, first 2 shown]
	v_pk_fma_f32 v[194:195], v[82:83], s[18:19], v[196:197] op_sel:[0,0,1] op_sel_hi:[1,0,0]
	v_pk_fma_f32 v[196:197], v[82:83], s[18:19], v[196:197] op_sel:[0,0,1] op_sel_hi:[1,0,0] neg_lo:[0,0,1] neg_hi:[0,0,1]
	v_mov_b32_e32 v204, v194
	v_mov_b32_e32 v205, v197
	v_pk_add_f32 v[202:203], v[204:205], v[202:203]
	ds_write2_b64 v2, v[200:201], v[202:203] offset0:4 offset1:5
	v_pk_mul_f32 v[200:201], v[132:133], s[20:21] op_sel_hi:[1,0]
	v_mov_b32_e32 v189, v187
	v_pk_fma_f32 v[202:203], v[130:131], s[18:19], v[200:201] op_sel:[0,0,1] op_sel_hi:[1,0,0]
	v_pk_fma_f32 v[200:201], v[130:131], s[18:19], v[200:201] op_sel:[0,0,1] op_sel_hi:[1,0,0] neg_lo:[0,0,1] neg_hi:[0,0,1]
	v_mov_b32_e32 v204, v202
	v_mov_b32_e32 v205, v201
	v_pk_add_f32 v[204:205], v[0:1], v[204:205]
	v_mov_b32_e32 v201, v203
	v_pk_add_f32 v[204:205], v[210:211], v[204:205]
	v_pk_mul_f32 v[210:211], v[124:125], s[22:23] op_sel_hi:[1,0]
	v_pk_add_f32 v[14:15], v[0:1], v[200:201]
	v_pk_fma_f32 v[10:11], v[122:123], s[12:13], v[210:211] op_sel:[0,0,1] op_sel_hi:[1,0,0]
	v_pk_fma_f32 v[210:211], v[122:123], s[12:13], v[210:211] op_sel:[0,0,1] op_sel_hi:[1,0,0] neg_lo:[0,0,1] neg_hi:[0,0,1]
	v_mov_b32_e32 v214, v10
	v_mov_b32_e32 v215, v211
	v_pk_add_f32 v[204:205], v[214:215], v[204:205]
	v_pk_mul_f32 v[214:215], v[120:121], s[26:27] op_sel_hi:[1,0]
	v_pk_add_f32 v[14:15], v[206:207], v[14:15]
	v_pk_fma_f32 v[6:7], v[114:115], s[24:25], v[214:215] op_sel:[0,0,1] op_sel_hi:[1,0,0]
	v_pk_fma_f32 v[214:215], v[114:115], s[24:25], v[214:215] op_sel:[0,0,1] op_sel_hi:[1,0,0] neg_lo:[0,0,1] neg_hi:[0,0,1]
	v_mov_b32_e32 v218, v6
	v_mov_b32_e32 v219, v215
	v_pk_add_f32 v[204:205], v[218:219], v[204:205]
	v_pk_mul_f32 v[218:219], v[112:113], s[44:45] op_sel_hi:[1,0]
	v_mov_b32_e32 v211, v11
	v_pk_fma_f32 v[220:221], v[106:107], s[6:7], v[218:219] op_sel:[0,0,1] op_sel_hi:[1,0,0]
	v_pk_fma_f32 v[218:219], v[106:107], s[6:7], v[218:219] op_sel:[0,0,1] op_sel_hi:[1,0,0] neg_lo:[0,0,1] neg_hi:[0,0,1]
	v_mov_b32_e32 v222, v220
	v_mov_b32_e32 v223, v219
	v_pk_add_f32 v[204:205], v[222:223], v[204:205]
	v_pk_mul_f32 v[222:223], v[104:105], s[36:37] op_sel_hi:[1,0]
	v_pk_add_f32 v[10:11], v[210:211], v[14:15]
	v_pk_fma_f32 v[224:225], v[98:99], s[10:11], v[222:223] op_sel:[0,0,1] op_sel_hi:[1,0,0]
	v_pk_fma_f32 v[222:223], v[98:99], s[10:11], v[222:223] op_sel:[0,0,1] op_sel_hi:[1,0,0] neg_lo:[0,0,1] neg_hi:[0,0,1]
	v_mov_b32_e32 v226, v224
	v_mov_b32_e32 v227, v223
	v_pk_add_f32 v[204:205], v[226:227], v[204:205]
	v_pk_mul_f32 v[226:227], v[92:93], s[30:31] op_sel_hi:[1,0]
	v_mov_b32_e32 v215, v7
	;; [unrolled: 14-line block ×3, first 2 shown]
	v_pk_fma_f32 v[236:237], v[130:131], s[24:25], v[234:235] op_sel:[0,0,1] op_sel_hi:[1,0,0]
	v_pk_fma_f32 v[234:235], v[130:131], s[24:25], v[234:235] op_sel:[0,0,1] op_sel_hi:[1,0,0] neg_lo:[0,0,1] neg_hi:[0,0,1]
	v_mov_b32_e32 v238, v236
	v_mov_b32_e32 v239, v235
	v_pk_add_f32 v[238:239], v[0:1], v[238:239]
	v_mov_b32_e32 v235, v237
	v_pk_add_f32 v[238:239], v[244:245], v[238:239]
	v_pk_mul_f32 v[244:245], v[124:125], s[34:35] op_sel_hi:[1,0]
	v_pk_mul_f32 v[124:125], v[124:125], s[26:27] op_sel_hi:[1,0]
	v_pk_fma_f32 v[246:247], v[122:123], s[6:7], v[244:245] op_sel:[0,0,1] op_sel_hi:[1,0,0]
	v_pk_fma_f32 v[244:245], v[122:123], s[6:7], v[244:245] op_sel:[0,0,1] op_sel_hi:[1,0,0] neg_lo:[0,0,1] neg_hi:[0,0,1]
	v_mov_b32_e32 v248, v246
	v_mov_b32_e32 v249, v245
	v_pk_add_f32 v[238:239], v[248:249], v[238:239]
	v_pk_mul_f32 v[248:249], v[120:121], s[50:51] op_sel_hi:[1,0]
	v_pk_mul_f32 v[120:121], v[120:121], s[42:43] op_sel_hi:[1,0]
	v_pk_fma_f32 v[250:251], v[114:115], s[18:19], v[248:249] op_sel:[0,0,1] op_sel_hi:[1,0,0]
	v_pk_fma_f32 v[248:249], v[114:115], s[18:19], v[248:249] op_sel:[0,0,1] op_sel_hi:[1,0,0] neg_lo:[0,0,1] neg_hi:[0,0,1]
	v_mov_b32_e32 v252, v250
	;; [unrolled: 7-line block ×6, first 2 shown]
	v_mov_b32_e32 v209, v141
	v_pk_add_f32 v[44:45], v[208:209], v[44:45]
	ds_write2_b64 v2, v[204:205], v[44:45] offset0:6 offset1:7
	v_pk_mul_f32 v[44:45], v[132:133], s[30:31] op_sel_hi:[1,0]
	v_mov_b32_e32 v245, v247
	v_pk_fma_f32 v[132:133], v[130:131], s[28:29], v[44:45] op_sel:[0,0,1] op_sel_hi:[1,0,0]
	v_pk_fma_f32 v[44:45], v[130:131], s[28:29], v[44:45] op_sel:[0,0,1] op_sel_hi:[1,0,0] neg_lo:[0,0,1] neg_hi:[0,0,1]
	v_pk_fma_f32 v[130:131], v[126:127], s[12:13], v[128:129] op_sel:[0,0,1] op_sel_hi:[1,0,0]
	v_pk_fma_f32 v[126:127], v[126:127], s[12:13], v[128:129] op_sel:[0,0,1] op_sel_hi:[1,0,0] neg_lo:[0,0,1] neg_hi:[0,0,1]
	v_mov_b32_e32 v128, v132
	v_mov_b32_e32 v129, v45
	v_pk_add_f32 v[128:129], v[0:1], v[128:129]
	v_mov_b32_e32 v204, v130
	v_mov_b32_e32 v205, v127
	v_pk_add_f32 v[128:129], v[204:205], v[128:129]
	v_pk_fma_f32 v[204:205], v[122:123], s[24:25], v[124:125] op_sel:[0,0,1] op_sel_hi:[1,0,0]
	v_pk_fma_f32 v[122:123], v[122:123], s[24:25], v[124:125] op_sel:[0,0,1] op_sel_hi:[1,0,0] neg_lo:[0,0,1] neg_hi:[0,0,1]
	v_mov_b32_e32 v124, v204
	v_mov_b32_e32 v125, v123
	v_pk_add_f32 v[124:125], v[124:125], v[128:129]
	v_pk_fma_f32 v[128:129], v[114:115], s[10:11], v[120:121] op_sel:[0,0,1] op_sel_hi:[1,0,0]
	v_pk_fma_f32 v[114:115], v[114:115], s[10:11], v[120:121] op_sel:[0,0,1] op_sel_hi:[1,0,0] neg_lo:[0,0,1] neg_hi:[0,0,1]
	;; [unrolled: 5-line block ×3, first 2 shown]
	v_mov_b32_e32 v45, v133
	v_mov_b32_e32 v112, v124
	;; [unrolled: 1-line block ×4, first 2 shown]
	v_pk_add_f32 v[44:45], v[0:1], v[44:45]
	v_pk_add_f32 v[112:113], v[112:113], v[120:121]
	v_pk_fma_f32 v[120:121], v[98:99], s[8:9], v[104:105] op_sel:[0,0,1] op_sel_hi:[1,0,0]
	v_pk_fma_f32 v[98:99], v[98:99], s[8:9], v[104:105] op_sel:[0,0,1] op_sel_hi:[1,0,0] neg_lo:[0,0,1] neg_hi:[0,0,1]
	v_pk_add_f32 v[44:45], v[126:127], v[44:45]
	v_mov_b32_e32 v123, v205
	v_mov_b32_e32 v104, v120
	v_mov_b32_e32 v105, v99
	v_pk_add_f32 v[44:45], v[122:123], v[44:45]
	v_mov_b32_e32 v115, v129
	v_pk_add_f32 v[104:105], v[104:105], v[112:113]
	v_pk_fma_f32 v[112:113], v[90:91], s[14:15], v[92:93] op_sel:[0,0,1] op_sel_hi:[1,0,0]
	v_pk_fma_f32 v[90:91], v[90:91], s[14:15], v[92:93] op_sel:[0,0,1] op_sel_hi:[1,0,0] neg_lo:[0,0,1] neg_hi:[0,0,1]
	v_pk_add_f32 v[44:45], v[114:115], v[44:45]
	v_mov_b32_e32 v107, v125
	v_mov_b32_e32 v92, v112
	v_mov_b32_e32 v93, v91
	v_pk_add_f32 v[44:45], v[106:107], v[44:45]
	v_mov_b32_e32 v99, v121
	;; [unrolled: 9-line block ×3, first 2 shown]
	v_pk_add_f32 v[88:89], v[88:89], v[92:93]
	v_pk_add_f32 v[44:45], v[82:83], v[44:45]
	ds_write2_b64 v2, v[88:89], v[44:45] offset0:8 offset1:9
	v_pk_add_f32 v[44:45], v[0:1], v[234:235]
	v_mov_b32_e32 v249, v251
	v_pk_add_f32 v[44:45], v[240:241], v[44:45]
	v_mov_b32_e32 v253, v35
	;; [unrolled: 2-line block ×3, first 2 shown]
	v_pk_add_f32 v[44:45], v[248:249], v[44:45]
	v_pk_add_f32 v[6:7], v[218:219], v[6:7]
	;; [unrolled: 1-line block ×3, first 2 shown]
	v_mov_b32_e32 v223, v225
	v_pk_add_f32 v[34:35], v[254:255], v[34:35]
	v_mov_b32_e32 v239, v173
	v_pk_add_f32 v[6:7], v[222:223], v[6:7]
	;; [unrolled: 2-line block ×5, first 2 shown]
	v_pk_add_f32 v[6:7], v[230:231], v[6:7]
	ds_write2_b64 v2, v[34:35], v[6:7] offset0:10 offset1:11
	v_pk_add_f32 v[6:7], v[0:1], v[166:167]
	v_pk_add_f32 v[10:11], v[0:1], v[134:135]
	;; [unrolled: 1-line block ×11, first 2 shown]
	v_mov_b32_e32 v193, v191
	v_pk_add_f32 v[10:11], v[156:157], v[10:11]
	v_mov_b32_e32 v161, v159
	v_pk_add_f32 v[6:7], v[192:193], v[6:7]
	;; [unrolled: 2-line block ×4, first 2 shown]
	v_pk_add_f32 v[10:11], v[164:165], v[10:11]
	v_mov_b32_e32 v71, v73
	v_mov_b32_e32 v39, v41
	;; [unrolled: 1-line block ×3, first 2 shown]
	ds_write2_b64 v2, v[6:7], v[10:11] offset0:12 offset1:13
	v_mov_b32_e32 v75, v27
	v_pk_add_f32 v[6:7], v[0:1], v[70:71]
	v_mov_b32_e32 v43, v31
	v_pk_add_f32 v[10:11], v[0:1], v[38:39]
	v_pk_add_f32 v[0:1], v[0:1], v[4:5]
	v_accvgpr_read_b32 v9, a1
	v_pk_add_f32 v[6:7], v[74:75], v[6:7]
	v_mov_b32_e32 v81, v79
	v_pk_add_f32 v[10:11], v[42:43], v[10:11]
	v_mov_b32_e32 v49, v47
	v_pk_add_f32 v[0:1], v[8:9], v[0:1]
	v_accvgpr_read_b32 v13, a3
	v_pk_add_f32 v[6:7], v[80:81], v[6:7]
	v_mov_b32_e32 v87, v85
	v_pk_add_f32 v[10:11], v[48:49], v[10:11]
	v_mov_b32_e32 v53, v51
	;; [unrolled: 6-line block ×6, first 2 shown]
	v_pk_add_f32 v[0:1], v[28:29], v[0:1]
	v_accvgpr_read_b32 v37, a13
	v_pk_add_f32 v[6:7], v[118:119], v[6:7]
	v_pk_add_f32 v[10:11], v[68:69], v[10:11]
	;; [unrolled: 1-line block ×3, first 2 shown]
	ds_write2_b64 v2, v[6:7], v[10:11] offset0:14 offset1:15
	ds_write_b64 v2, v[0:1] offset:128
.LBB0_19:
	s_or_b64 exec, exec, s[2:3]
	s_movk_i32 s2, 0xf1
	v_mul_lo_u16_sdwa v0, v32, s2 dst_sel:DWORD dst_unused:UNUSED_PAD src0_sel:BYTE_0 src1_sel:DWORD
	v_lshrrev_b16_e32 v34, 12, v0
	v_mul_lo_u16_e32 v0, 17, v34
	v_sub_u16_e32 v35, v32, v0
	v_mov_b32_e32 v0, 9
	v_mul_u32_u24_sdwa v0, v35, v0 dst_sel:DWORD dst_unused:UNUSED_PAD src0_sel:BYTE_0 src1_sel:DWORD
	v_lshlrev_b32_e32 v0, 3, v0
	s_waitcnt lgkmcnt(0)
	s_barrier
	global_load_dwordx4 v[2:5], v0, s[4:5]
	global_load_dwordx4 v[6:9], v0, s[4:5] offset:16
	global_load_dwordx4 v[10:13], v0, s[4:5] offset:32
	global_load_dwordx4 v[14:17], v0, s[4:5] offset:48
	global_load_dwordx2 v[30:31], v0, s[4:5] offset:64
	v_add_u32_e32 v0, 0x1400, v198
	ds_read2_b64 v[18:21], v198 offset1:170
	ds_read2_b64 v[22:25], v33 offset0:84 offset1:254
	v_add_u32_e32 v1, 0x1e00, v198
	ds_read2_b64 v[26:29], v199 offset0:80 offset1:250
	ds_read2_b64 v[36:39], v0 offset0:40 offset1:210
	;; [unrolled: 1-line block ×3, first 2 shown]
	v_mov_b32_e32 v44, 3
	v_mul_u32_u24_e32 v34, 0x550, v34
	v_lshlrev_b32_sdwa v35, v44, v35 dst_sel:DWORD dst_unused:UNUSED_PAD src0_sel:DWORD src1_sel:BYTE_0
	v_add3_u32 v53, 0, v34, v35
	s_mov_b32 s2, 0x3e9e377a
	s_mov_b32 s3, 0x3f167918
	;; [unrolled: 1-line block ×8, first 2 shown]
	s_waitcnt lgkmcnt(0)
	s_barrier
	s_mov_b32 s14, s2
	s_mov_b32 s15, s6
	;; [unrolled: 1-line block ×6, first 2 shown]
	s_waitcnt vmcnt(4)
	v_pk_mul_f32 v[34:35], v[2:3], v[20:21] op_sel:[0,1]
	v_pk_mul_f32 v[44:45], v[4:5], v[22:23] op_sel:[0,1]
	s_waitcnt vmcnt(3)
	v_pk_mul_f32 v[46:47], v[6:7], v[24:25] op_sel:[0,1]
	v_pk_mul_f32 v[48:49], v[8:9], v[36:37] op_sel:[0,1]
	s_waitcnt vmcnt(2)
	v_pk_mul_f32 v[50:51], v[10:11], v[38:39] op_sel:[0,1]
	v_mov_b32_e32 v52, v13
	s_waitcnt vmcnt(1)
	v_pk_mul_f32 v[54:55], v[42:43], v[14:15] op_sel:[0,1]
	v_mov_b32_e32 v56, v17
	s_waitcnt vmcnt(0)
	v_pk_mul_f32 v[58:59], v[28:29], v[30:31] op_sel:[0,1]
	v_pk_fma_f32 v[60:61], v[2:3], v[20:21], v[34:35] op_sel:[0,0,1] op_sel_hi:[1,0,0]
	v_pk_fma_f32 v[2:3], v[2:3], v[20:21], v[34:35] op_sel:[0,0,1] op_sel_hi:[1,0,0] neg_lo:[1,0,0] neg_hi:[1,0,0]
	v_pk_fma_f32 v[20:21], v[4:5], v[22:23], v[44:45] op_sel:[0,0,1] op_sel_hi:[1,1,0]
	v_pk_fma_f32 v[4:5], v[4:5], v[22:23], v[44:45] op_sel:[0,0,1] op_sel_hi:[1,0,0] neg_lo:[1,0,0] neg_hi:[1,0,0]
	;; [unrolled: 2-line block ×5, first 2 shown]
	v_pk_mul_f32 v[36:37], v[40:41], v[52:53] op_sel_hi:[1,0]
	v_pk_fma_f32 v[38:39], v[42:43], v[14:15], v[54:55] op_sel:[0,0,1] op_sel_hi:[1,1,0]
	v_pk_fma_f32 v[14:15], v[42:43], v[14:15], v[54:55] op_sel:[0,0,1] op_sel_hi:[1,0,0] neg_lo:[0,0,1] neg_hi:[0,0,1]
	v_pk_mul_f32 v[42:43], v[26:27], v[56:57] op_sel_hi:[1,0]
	v_pk_fma_f32 v[44:45], v[28:29], v[30:31], v[58:59] op_sel:[0,0,1] op_sel_hi:[1,1,0]
	v_pk_fma_f32 v[28:29], v[28:29], v[30:31], v[58:59] op_sel:[0,0,1] op_sel_hi:[1,0,0] neg_lo:[0,0,1] neg_hi:[0,0,1]
	v_mov_b32_e32 v21, v5
	v_mov_b32_e32 v25, v9
	v_pk_fma_f32 v[4:5], v[40:41], v[12:13], v[36:37] op_sel:[0,0,1] op_sel_hi:[1,1,0]
	v_pk_fma_f32 v[8:9], v[40:41], v[12:13], v[36:37] op_sel:[0,0,1] op_sel_hi:[1,0,0] neg_lo:[0,0,1] neg_hi:[0,0,1]
	v_pk_fma_f32 v[12:13], v[26:27], v[16:17], v[42:43] op_sel:[0,0,1] op_sel_hi:[1,1,0]
	v_pk_fma_f32 v[16:17], v[26:27], v[16:17], v[42:43] op_sel:[0,0,1] op_sel_hi:[1,0,0] neg_lo:[0,0,1] neg_hi:[0,0,1]
	v_mov_b32_e32 v26, v22
	v_mov_b32_e32 v27, v44
	;; [unrolled: 1-line block ×4, first 2 shown]
	v_pk_add_f32 v[42:43], v[26:27], v[30:31] neg_lo:[0,1] neg_hi:[0,1]
	v_pk_add_f32 v[26:27], v[30:31], v[26:27] neg_lo:[0,1] neg_hi:[0,1]
	v_mov_b32_e32 v23, v7
	v_mov_b32_e32 v45, v29
	;; [unrolled: 1-line block ×6, first 2 shown]
	v_pk_add_f32 v[36:37], v[22:23], v[44:45] neg_lo:[0,1] neg_hi:[0,1]
	v_pk_add_f32 v[46:47], v[22:23], v[44:45]
	v_mov_b32_e32 v2, v43
	v_pk_add_f32 v[26:27], v[26:27], v[6:7]
	v_mov_b32_e32 v13, v17
	v_pk_add_f32 v[16:17], v[34:35], v[38:39]
	v_pk_add_f32 v[40:41], v[34:35], v[38:39] neg_lo:[0,1] neg_hi:[0,1]
	v_fmac_f32_e32 v14, -0.5, v46
	v_pk_add_f32 v[30:31], v[42:43], v[2:3]
	v_mov_b32_e32 v27, v37
	v_fma_f32 v10, -0.5, v16, v60
	v_fmamk_f32 v28, v41, 0x3f737871, v14
	v_mov_b32_e32 v31, v41
	v_pk_mul_f32 v[26:27], v[26:27], s[2:3]
	v_fmac_f32_e32 v14, 0xbf737871, v41
	v_fmamk_f32 v16, v37, 0xbf737871, v10
	v_pk_mul_f32 v[30:31], v[30:31], s[2:3]
	v_add_f32_e32 v14, v27, v14
	v_fmac_f32_e32 v10, 0x3f737871, v37
	v_sub_f32_e32 v2, v16, v31
	v_sub_f32_e32 v6, v28, v27
	v_add_f32_e32 v16, v26, v14
	v_mov_b32_e32 v28, v7
	v_mov_b32_e32 v14, v11
	v_add_f32_e32 v10, v31, v10
	v_add_f32_e32 v6, v26, v6
	v_fma_f32 v17, -0.5, v17, v3
	v_pk_add_f32 v[26:27], v[28:29], v[14:15] neg_lo:[0,1] neg_hi:[0,1]
	v_add_f32_e32 v2, v30, v2
	v_add_f32_e32 v10, v30, v10
	v_fmamk_f32 v31, v36, 0x3f737871, v17
	v_mov_b32_e32 v30, v27
	v_pk_add_f32 v[26:27], v[26:27], v[30:31]
	v_mov_b32_e32 v61, v3
	v_mov_b32_e32 v27, v40
	v_pk_add_f32 v[14:15], v[14:15], v[28:29] neg_lo:[0,1] neg_hi:[0,1]
	v_pk_add_f32 v[22:23], v[60:61], v[22:23]
	v_pk_mul_f32 v[26:27], v[26:27], s[2:3]
	v_mov_b32_e32 v28, v15
	v_mov_b32_e32 v5, v9
	v_pk_add_f32 v[22:23], v[22:23], v[34:35]
	v_add_f32_e32 v7, v27, v31
	v_fmac_f32_e32 v17, 0xbf737871, v36
	v_pk_add_f32 v[14:15], v[14:15], v[28:29]
	v_pk_add_f32 v[22:23], v[22:23], v[38:39]
	v_add_f32_e32 v30, v26, v7
	v_sub_f32_e32 v7, v17, v27
	v_fmac_f32_e32 v3, -0.5, v47
	v_mov_b32_e32 v15, v36
	v_pk_add_f32 v[36:37], v[24:25], v[4:5]
	v_pk_add_f32 v[38:39], v[20:21], v[12:13] neg_lo:[0,1] neg_hi:[0,1]
	v_add_f32_e32 v26, v26, v7
	v_fmamk_f32 v7, v40, 0xbf737871, v3
	v_fmac_f32_e32 v3, 0x3f737871, v40
	v_pk_fma_f32 v[36:37], v[36:37], 0.5, v[18:19] op_sel_hi:[1,0,1] neg_lo:[1,0,0] neg_hi:[1,0,0]
	v_pk_mul_f32 v[40:41], v[38:39], s[6:7] op_sel_hi:[1,0]
	v_pk_add_f32 v[42:43], v[24:25], v[4:5] neg_lo:[0,1] neg_hi:[0,1]
	v_pk_add_f32 v[46:47], v[20:21], v[24:25] neg_lo:[0,1] neg_hi:[0,1]
	;; [unrolled: 1-line block ×3, first 2 shown]
	v_pk_add_f32 v[8:9], v[18:19], v[20:21]
	v_pk_add_f32 v[22:23], v[22:23], v[44:45]
	v_pk_mul_f32 v[14:15], v[14:15], s[2:3]
	v_pk_mul_f32 v[44:45], v[42:43], s[10:11] op_sel_hi:[1,0]
	v_pk_add_f32 v[46:47], v[46:47], v[48:49]
	v_pk_add_f32 v[48:49], v[36:37], v[40:41] op_sel:[0,1] op_sel_hi:[1,0] neg_lo:[0,1] neg_hi:[0,1]
	v_pk_add_f32 v[36:37], v[36:37], v[40:41] op_sel:[0,1] op_sel_hi:[1,0]
	v_pk_add_f32 v[8:9], v[8:9], v[24:25]
	v_add_f32_e32 v7, v15, v7
	v_sub_f32_e32 v3, v3, v15
	v_pk_add_f32 v[36:37], v[36:37], v[44:45] op_sel:[0,1] op_sel_hi:[1,0]
	v_pk_add_f32 v[40:41], v[48:49], v[44:45] op_sel:[0,1] op_sel_hi:[1,0] neg_lo:[0,1] neg_hi:[0,1]
	v_pk_mul_f32 v[30:31], v[30:31], s[8:9] op_sel_hi:[0,1]
	v_pk_add_f32 v[8:9], v[8:9], v[4:5]
	v_add_f32_e32 v28, v14, v7
	v_add_f32_e32 v14, v14, v3
	v_mov_b32_e32 v44, v40
	v_mov_b32_e32 v45, v37
	v_pk_fma_f32 v[48:49], v[2:3], s[12:13], v[30:31] neg_lo:[0,0,1] neg_hi:[0,0,1]
	v_pk_fma_f32 v[2:3], v[2:3], s[12:13], v[30:31] op_sel_hi:[0,1,1]
	v_pk_add_f32 v[8:9], v[8:9], v[12:13]
	v_pk_fma_f32 v[44:45], v[46:47], s[2:3], v[44:45] op_sel_hi:[1,0,1]
	v_mov_b32_e32 v49, v3
	v_pk_add_f32 v[34:35], v[8:9], v[22:23]
	v_pk_add_f32 v[2:3], v[44:45], v[48:49]
	ds_write2_b64 v53, v[34:35], v[2:3] offset1:17
	v_pk_add_f32 v[2:3], v[20:21], v[12:13]
	s_mov_b32 s7, s2
	v_pk_fma_f32 v[2:3], v[2:3], 0.5, v[18:19] op_sel_hi:[1,0,1] neg_lo:[1,0,0] neg_hi:[1,0,0]
	v_pk_add_f32 v[18:19], v[24:25], v[20:21] neg_lo:[0,1] neg_hi:[0,1]
	v_pk_add_f32 v[4:5], v[4:5], v[12:13] neg_lo:[0,1] neg_hi:[0,1]
	v_pk_mul_f32 v[12:13], v[28:29], s[6:7] op_sel_hi:[0,1]
	v_pk_add_f32 v[4:5], v[18:19], v[4:5]
	v_pk_fma_f32 v[18:19], v[6:7], s[14:15], v[12:13] neg_lo:[0,0,1] neg_hi:[0,0,1]
	v_pk_fma_f32 v[6:7], v[6:7], s[14:15], v[12:13] op_sel_hi:[0,1,1]
	v_mov_b32_e32 v19, v7
	v_pk_mul_f32 v[6:7], v[42:43], s[6:7] op_sel_hi:[1,0]
	v_pk_mul_f32 v[12:13], v[38:39], s[10:11] op_sel_hi:[1,0]
	v_pk_add_f32 v[20:21], v[2:3], v[6:7] op_sel:[0,1] op_sel_hi:[1,0]
	v_pk_add_f32 v[2:3], v[2:3], v[6:7] op_sel:[0,1] op_sel_hi:[1,0] neg_lo:[0,1] neg_hi:[0,1]
	v_pk_add_f32 v[6:7], v[20:21], v[12:13] op_sel:[0,1] op_sel_hi:[1,0] neg_lo:[0,1] neg_hi:[0,1]
	v_pk_add_f32 v[2:3], v[2:3], v[12:13] op_sel:[0,1] op_sel_hi:[1,0]
	v_mov_b32_e32 v12, v6
	v_mov_b32_e32 v13, v3
	v_pk_mul_f32 v[14:15], v[14:15], s[6:7] op_sel_hi:[0,1]
	v_mov_b32_e32 v3, v7
	v_pk_fma_f32 v[12:13], v[4:5], s[2:3], v[12:13] op_sel_hi:[1,0,1]
	v_pk_fma_f32 v[14:15], v[16:17], s[16:17], v[14:15] op_sel_hi:[0,1,1] neg_lo:[0,0,1] neg_hi:[0,0,1]
	v_pk_fma_f32 v[2:3], v[4:5], s[2:3], v[2:3] op_sel_hi:[1,0,1]
	v_pk_add_f32 v[20:21], v[12:13], v[18:19]
	v_pk_add_f32 v[4:5], v[2:3], v[14:15]
	ds_write2_b64 v53, v[20:21], v[4:5] offset0:34 offset1:51
	v_pk_mul_f32 v[4:5], v[26:27], s[8:9] op_sel_hi:[0,1]
	v_mov_b32_e32 v37, v41
	v_pk_fma_f32 v[4:5], v[10:11], s[18:19], v[4:5] op_sel_hi:[0,1,1] neg_lo:[0,0,1] neg_hi:[0,0,1]
	v_pk_fma_f32 v[6:7], v[46:47], s[2:3], v[36:37] op_sel_hi:[1,0,1]
	v_pk_add_f32 v[2:3], v[2:3], v[14:15] neg_lo:[0,1] neg_hi:[0,1]
	v_pk_add_f32 v[10:11], v[6:7], v[4:5]
	v_pk_add_f32 v[4:5], v[6:7], v[4:5] neg_lo:[0,1] neg_hi:[0,1]
	v_pk_add_f32 v[8:9], v[8:9], v[22:23] neg_lo:[0,1] neg_hi:[0,1]
	ds_write2_b64 v53, v[2:3], v[4:5] offset0:136 offset1:153
	v_mul_u32_u24_e32 v2, 9, v32
	ds_write2_b64 v53, v[10:11], v[8:9] offset0:68 offset1:85
	v_pk_add_f32 v[8:9], v[44:45], v[48:49] neg_lo:[0,1] neg_hi:[0,1]
	v_pk_add_f32 v[10:11], v[12:13], v[18:19] neg_lo:[0,1] neg_hi:[0,1]
	v_lshlrev_b32_e32 v18, 3, v2
	ds_write2_b64 v53, v[8:9], v[10:11] offset0:102 offset1:119
	s_waitcnt lgkmcnt(0)
	s_barrier
	global_load_dwordx4 v[2:5], v18, s[4:5] offset:1224
	global_load_dwordx4 v[6:9], v18, s[4:5] offset:1240
	;; [unrolled: 1-line block ×4, first 2 shown]
	global_load_dwordx2 v[30:31], v18, s[4:5] offset:1288
	ds_read2_b64 v[18:21], v198 offset1:170
	ds_read2_b64 v[22:25], v33 offset0:84 offset1:254
	ds_read2_b64 v[26:29], v0 offset0:40 offset1:210
	;; [unrolled: 1-line block ×4, first 2 shown]
	s_waitcnt lgkmcnt(0)
	s_barrier
	s_waitcnt vmcnt(4)
	v_pk_mul_f32 v[34:35], v[2:3], v[20:21] op_sel:[0,1]
	s_nop 0
	v_pk_fma_f32 v[44:45], v[2:3], v[20:21], v[34:35] op_sel:[0,0,1] op_sel_hi:[1,0,0]
	v_pk_fma_f32 v[2:3], v[2:3], v[20:21], v[34:35] op_sel:[0,0,1] op_sel_hi:[1,0,0] neg_lo:[1,0,0] neg_hi:[1,0,0]
	v_pk_mul_f32 v[20:21], v[4:5], v[22:23] op_sel:[0,1]
	s_waitcnt vmcnt(2)
	v_mov_b32_e32 v2, v13
	v_pk_fma_f32 v[34:35], v[4:5], v[22:23], v[20:21] op_sel:[0,0,1] op_sel_hi:[1,1,0]
	v_pk_fma_f32 v[4:5], v[4:5], v[22:23], v[20:21] op_sel:[0,0,1] op_sel_hi:[1,0,0] neg_lo:[1,0,0] neg_hi:[1,0,0]
	v_mov_b32_e32 v45, v3
	v_mov_b32_e32 v35, v5
	v_pk_mul_f32 v[4:5], v[6:7], v[24:25] op_sel:[0,1]
	s_nop 0
	v_pk_fma_f32 v[20:21], v[6:7], v[24:25], v[4:5] op_sel:[0,0,1] op_sel_hi:[1,1,0]
	v_pk_fma_f32 v[4:5], v[6:7], v[24:25], v[4:5] op_sel:[0,0,1] op_sel_hi:[1,0,0] neg_lo:[1,0,0] neg_hi:[1,0,0]
	v_pk_mul_f32 v[6:7], v[8:9], v[26:27] op_sel:[0,1]
	v_mov_b32_e32 v21, v5
	v_pk_fma_f32 v[22:23], v[8:9], v[26:27], v[6:7] op_sel:[0,0,1] op_sel_hi:[1,1,0]
	v_pk_fma_f32 v[6:7], v[8:9], v[26:27], v[6:7] op_sel:[0,0,1] op_sel_hi:[1,0,0] neg_lo:[1,0,0] neg_hi:[1,0,0]
	s_nop 0
	v_mov_b32_e32 v23, v7
	v_pk_mul_f32 v[6:7], v[10:11], v[28:29] op_sel:[0,1]
	s_nop 0
	v_pk_fma_f32 v[8:9], v[10:11], v[28:29], v[6:7] op_sel:[0,0,1] op_sel_hi:[1,1,0]
	v_pk_fma_f32 v[6:7], v[10:11], v[28:29], v[6:7] op_sel:[0,0,1] op_sel_hi:[1,0,0] neg_lo:[1,0,0] neg_hi:[1,0,0]
	v_pk_mul_f32 v[10:11], v[36:37], v[2:3] op_sel_hi:[1,0]
	s_waitcnt vmcnt(1)
	v_mov_b32_e32 v2, v17
	v_pk_fma_f32 v[24:25], v[36:37], v[12:13], v[10:11] op_sel:[0,0,1] op_sel_hi:[1,1,0]
	v_pk_fma_f32 v[10:11], v[36:37], v[12:13], v[10:11] op_sel:[0,0,1] op_sel_hi:[1,0,0] neg_lo:[0,0,1] neg_hi:[0,0,1]
	v_mov_b32_e32 v9, v7
	v_mov_b32_e32 v25, v11
	v_pk_mul_f32 v[10:11], v[38:39], v[14:15] op_sel:[0,1]
	v_pk_add_f32 v[28:29], v[18:19], v[34:35]
	v_pk_fma_f32 v[12:13], v[38:39], v[14:15], v[10:11] op_sel:[0,0,1] op_sel_hi:[1,1,0]
	v_pk_fma_f32 v[10:11], v[38:39], v[14:15], v[10:11] op_sel:[0,0,1] op_sel_hi:[1,0,0] neg_lo:[0,0,1] neg_hi:[0,0,1]
	v_pk_mul_f32 v[14:15], v[40:41], v[2:3] op_sel_hi:[1,0]
	v_mov_b32_e32 v13, v11
	v_pk_fma_f32 v[26:27], v[40:41], v[16:17], v[14:15] op_sel:[0,0,1] op_sel_hi:[1,1,0]
	v_pk_fma_f32 v[14:15], v[40:41], v[16:17], v[14:15] op_sel:[0,0,1] op_sel_hi:[1,0,0] neg_lo:[0,0,1] neg_hi:[0,0,1]
	v_mov_b32_e32 v40, v20
	v_mov_b32_e32 v27, v15
	s_waitcnt vmcnt(0)
	v_pk_mul_f32 v[14:15], v[42:43], v[30:31] op_sel:[0,1]
	v_pk_add_f32 v[38:39], v[8:9], v[12:13] neg_lo:[0,1] neg_hi:[0,1]
	v_pk_fma_f32 v[16:17], v[42:43], v[30:31], v[14:15] op_sel:[0,0,1] op_sel_hi:[1,1,0]
	v_pk_fma_f32 v[14:15], v[42:43], v[30:31], v[14:15] op_sel:[0,0,1] op_sel_hi:[1,0,0] neg_lo:[0,0,1] neg_hi:[0,0,1]
	v_mov_b32_e32 v41, v16
	v_mov_b32_e32 v42, v8
	;; [unrolled: 1-line block ×3, first 2 shown]
	v_pk_add_f32 v[46:47], v[40:41], v[42:43] neg_lo:[0,1] neg_hi:[0,1]
	v_mov_b32_e32 v17, v15
	v_mov_b32_e32 v2, v47
	v_pk_add_f32 v[30:31], v[8:9], v[12:13]
	v_pk_add_f32 v[46:47], v[46:47], v[2:3]
	v_fma_f32 v4, -0.5, v30, v44
	v_pk_add_f32 v[36:37], v[20:21], v[16:17] neg_lo:[0,1] neg_hi:[0,1]
	v_mov_b32_e32 v47, v39
	v_fmamk_f32 v6, v37, 0xbf737871, v4
	v_pk_mul_f32 v[46:47], v[46:47], s[2:3]
	v_fmac_f32_e32 v4, 0x3f737871, v37
	v_pk_add_f32 v[40:41], v[42:43], v[40:41] neg_lo:[0,1] neg_hi:[0,1]
	v_sub_f32_e32 v2, v6, v47
	v_add_f32_e32 v4, v47, v4
	v_mov_b32_e32 v6, v41
	v_add_f32_e32 v2, v46, v2
	v_add_f32_e32 v4, v46, v4
	v_pk_add_f32 v[46:47], v[20:21], v[16:17]
	v_mov_b32_e32 v10, v44
	v_pk_add_f32 v[40:41], v[40:41], v[6:7]
	v_fmac_f32_e32 v10, -0.5, v46
	v_mov_b32_e32 v41, v37
	v_fmamk_f32 v14, v39, 0x3f737871, v10
	v_pk_mul_f32 v[40:41], v[40:41], s[2:3]
	v_fmac_f32_e32 v10, 0xbf737871, v39
	v_add_f32_e32 v10, v41, v10
	v_pk_add_f32 v[20:21], v[44:45], v[20:21]
	v_sub_f32_e32 v6, v14, v41
	v_add_f32_e32 v30, v40, v10
	v_pk_add_f32 v[8:9], v[20:21], v[8:9]
	v_mov_b32_e32 v14, v5
	v_mov_b32_e32 v10, v7
	v_pk_add_f32 v[8:9], v[8:9], v[12:13]
	v_pk_add_f32 v[12:13], v[14:15], v[10:11] neg_lo:[0,1] neg_hi:[0,1]
	v_pk_add_f32 v[8:9], v[8:9], v[16:17]
	v_fma_f32 v17, -0.5, v31, v3
	v_mov_b32_e32 v16, v13
	v_pk_add_f32 v[12:13], v[12:13], v[16:17]
	v_fmamk_f32 v20, v36, 0x3f737871, v17
	v_mov_b32_e32 v13, v38
	v_pk_mul_f32 v[12:13], v[12:13], s[2:3]
	v_pk_add_f32 v[10:11], v[10:11], v[14:15] neg_lo:[0,1] neg_hi:[0,1]
	v_add_f32_e32 v5, v13, v20
	v_fmac_f32_e32 v17, 0xbf737871, v36
	v_mov_b32_e32 v14, v11
	v_add_f32_e32 v16, v12, v5
	v_sub_f32_e32 v5, v17, v13
	v_fmac_f32_e32 v3, -0.5, v47
	v_pk_add_f32 v[10:11], v[10:11], v[14:15]
	v_add_f32_e32 v12, v12, v5
	v_fmamk_f32 v5, v38, 0xbf737871, v3
	v_mov_b32_e32 v11, v36
	v_fmac_f32_e32 v3, 0x3f737871, v38
	v_pk_add_f32 v[36:37], v[22:23], v[24:25]
	v_pk_add_f32 v[38:39], v[34:35], v[26:27] neg_lo:[0,1] neg_hi:[0,1]
	v_add_f32_e32 v6, v40, v6
	v_pk_fma_f32 v[36:37], v[36:37], 0.5, v[18:19] op_sel_hi:[1,0,1] neg_lo:[1,0,0] neg_hi:[1,0,0]
	v_pk_mul_f32 v[40:41], v[38:39], s[6:7] op_sel_hi:[1,0]
	v_pk_add_f32 v[42:43], v[22:23], v[24:25] neg_lo:[0,1] neg_hi:[0,1]
	v_pk_add_f32 v[46:47], v[34:35], v[22:23] neg_lo:[0,1] neg_hi:[0,1]
	;; [unrolled: 1-line block ×3, first 2 shown]
	v_pk_mul_f32 v[10:11], v[10:11], s[2:3]
	v_pk_mul_f32 v[44:45], v[42:43], s[10:11] op_sel_hi:[1,0]
	v_pk_add_f32 v[46:47], v[46:47], v[48:49]
	v_pk_add_f32 v[48:49], v[36:37], v[40:41] op_sel:[0,1] op_sel_hi:[1,0] neg_lo:[0,1] neg_hi:[0,1]
	v_pk_add_f32 v[36:37], v[36:37], v[40:41] op_sel:[0,1] op_sel_hi:[1,0]
	v_pk_add_f32 v[28:29], v[28:29], v[22:23]
	v_add_f32_e32 v5, v11, v5
	v_sub_f32_e32 v3, v3, v11
	v_pk_add_f32 v[36:37], v[36:37], v[44:45] op_sel:[0,1] op_sel_hi:[1,0]
	v_pk_add_f32 v[40:41], v[48:49], v[44:45] op_sel:[0,1] op_sel_hi:[1,0] neg_lo:[0,1] neg_hi:[0,1]
	v_pk_mul_f32 v[16:17], v[16:17], s[8:9] op_sel_hi:[0,1]
	v_pk_add_f32 v[28:29], v[28:29], v[24:25]
	v_add_f32_e32 v14, v10, v5
	v_add_f32_e32 v10, v10, v3
	v_mov_b32_e32 v44, v40
	v_mov_b32_e32 v45, v37
	v_pk_fma_f32 v[48:49], v[2:3], s[12:13], v[16:17] neg_lo:[0,0,1] neg_hi:[0,0,1]
	v_pk_fma_f32 v[2:3], v[2:3], s[12:13], v[16:17] op_sel_hi:[0,1,1]
	v_pk_add_f32 v[28:29], v[28:29], v[26:27]
	v_pk_fma_f32 v[44:45], v[46:47], s[2:3], v[44:45] op_sel_hi:[1,0,1]
	v_mov_b32_e32 v49, v3
	v_pk_add_f32 v[20:21], v[28:29], v[8:9]
	v_pk_add_f32 v[2:3], v[44:45], v[48:49]
	ds_write2_b64 v198, v[20:21], v[2:3] offset1:170
	v_pk_add_f32 v[2:3], v[34:35], v[26:27]
	v_pk_add_f32 v[16:17], v[22:23], v[34:35] neg_lo:[0,1] neg_hi:[0,1]
	v_pk_fma_f32 v[2:3], v[2:3], 0.5, v[18:19] op_sel_hi:[1,0,1] neg_lo:[1,0,0] neg_hi:[1,0,0]
	v_pk_add_f32 v[18:19], v[24:25], v[26:27] neg_lo:[0,1] neg_hi:[0,1]
	v_pk_mul_f32 v[14:15], v[14:15], s[6:7] op_sel_hi:[0,1]
	v_pk_add_f32 v[16:17], v[16:17], v[18:19]
	v_pk_fma_f32 v[18:19], v[6:7], s[14:15], v[14:15] neg_lo:[0,0,1] neg_hi:[0,0,1]
	v_pk_fma_f32 v[6:7], v[6:7], s[14:15], v[14:15] op_sel_hi:[0,1,1]
	v_mov_b32_e32 v19, v7
	v_pk_mul_f32 v[6:7], v[42:43], s[6:7] op_sel_hi:[1,0]
	v_pk_mul_f32 v[14:15], v[38:39], s[10:11] op_sel_hi:[1,0]
	v_pk_add_f32 v[20:21], v[2:3], v[6:7] op_sel:[0,1] op_sel_hi:[1,0]
	v_pk_add_f32 v[2:3], v[2:3], v[6:7] op_sel:[0,1] op_sel_hi:[1,0] neg_lo:[0,1] neg_hi:[0,1]
	v_pk_add_f32 v[6:7], v[20:21], v[14:15] op_sel:[0,1] op_sel_hi:[1,0] neg_lo:[0,1] neg_hi:[0,1]
	v_pk_add_f32 v[2:3], v[2:3], v[14:15] op_sel:[0,1] op_sel_hi:[1,0]
	v_mov_b32_e32 v14, v6
	v_mov_b32_e32 v15, v3
	v_pk_mul_f32 v[10:11], v[10:11], s[6:7] op_sel_hi:[0,1]
	v_mov_b32_e32 v3, v7
	v_pk_fma_f32 v[14:15], v[16:17], s[2:3], v[14:15] op_sel_hi:[1,0,1]
	v_pk_fma_f32 v[10:11], v[30:31], s[16:17], v[10:11] op_sel_hi:[0,1,1] neg_lo:[0,0,1] neg_hi:[0,0,1]
	v_pk_fma_f32 v[2:3], v[16:17], s[2:3], v[2:3] op_sel_hi:[1,0,1]
	v_pk_add_f32 v[20:21], v[14:15], v[18:19]
	v_pk_add_f32 v[6:7], v[2:3], v[10:11]
	ds_write2_b64 v33, v[20:21], v[6:7] offset0:84 offset1:254
	v_pk_mul_f32 v[6:7], v[12:13], s[8:9] op_sel_hi:[0,1]
	v_mov_b32_e32 v37, v41
	v_pk_fma_f32 v[4:5], v[4:5], s[18:19], v[6:7] op_sel_hi:[0,1,1] neg_lo:[0,0,1] neg_hi:[0,0,1]
	v_pk_fma_f32 v[6:7], v[46:47], s[2:3], v[36:37] op_sel_hi:[1,0,1]
	v_pk_add_f32 v[8:9], v[28:29], v[8:9] neg_lo:[0,1] neg_hi:[0,1]
	v_pk_add_f32 v[12:13], v[6:7], v[4:5]
	ds_write2_b64 v0, v[12:13], v[8:9] offset0:40 offset1:210
	v_pk_add_f32 v[8:9], v[44:45], v[48:49] neg_lo:[0,1] neg_hi:[0,1]
	v_pk_add_f32 v[12:13], v[14:15], v[18:19] neg_lo:[0,1] neg_hi:[0,1]
	ds_write2_b64 v1, v[8:9], v[12:13] offset0:60 offset1:230
	v_pk_add_f32 v[0:1], v[2:3], v[10:11] neg_lo:[0,1] neg_hi:[0,1]
	v_pk_add_f32 v[2:3], v[6:7], v[4:5] neg_lo:[0,1] neg_hi:[0,1]
	ds_write2_b64 v199, v[0:1], v[2:3] offset0:80 offset1:250
	s_waitcnt lgkmcnt(0)
	s_barrier
	s_and_saveexec_b64 s[2:3], s[0:1]
	s_cbranch_execz .LBB0_21
; %bb.20:
	v_lshl_add_u32 v8, v32, 3, 0
	ds_read2_b64 v[0:3], v8 offset1:170
	v_mov_b32_e32 v33, 0
	v_add_u32_e32 v4, 0xaa, v32
	v_lshl_add_u64 v[6:7], v[32:33], 3, v[216:217]
	v_mov_b32_e32 v5, v33
	s_waitcnt lgkmcnt(0)
	global_store_dwordx2 v[6:7], v[0:1], off
	v_lshl_add_u64 v[0:1], v[4:5], 3, v[216:217]
	v_add_u32_e32 v4, 0x800, v8
	ds_read2_b64 v[4:7], v4 offset0:84 offset1:254
	global_store_dwordx2 v[0:1], v[2:3], off
	v_add_u32_e32 v0, 0x154, v32
	v_mov_b32_e32 v1, v33
	v_lshl_add_u64 v[0:1], v[0:1], 3, v[216:217]
	s_waitcnt lgkmcnt(0)
	global_store_dwordx2 v[0:1], v[4:5], off
	v_add_u32_e32 v0, 0x1fe, v32
	v_mov_b32_e32 v1, v33
	v_lshl_add_u64 v[4:5], v[0:1], 3, v[216:217]
	v_add_u32_e32 v0, 0x1400, v8
	ds_read2_b64 v[0:3], v0 offset0:40 offset1:210
	global_store_dwordx2 v[4:5], v[6:7], off
	v_add_u32_e32 v4, 0x2a8, v32
	v_mov_b32_e32 v5, v33
	v_lshl_add_u64 v[4:5], v[4:5], 3, v[216:217]
	s_waitcnt lgkmcnt(0)
	global_store_dwordx2 v[4:5], v[0:1], off
	v_add_u32_e32 v4, 0x1e00, v8
	ds_read2_b64 v[4:7], v4 offset0:60 offset1:230
	v_add_u32_e32 v0, 0x352, v32
	v_mov_b32_e32 v1, v33
	v_lshl_add_u64 v[0:1], v[0:1], 3, v[216:217]
	global_store_dwordx2 v[0:1], v[2:3], off
	v_add_u32_e32 v0, 0x3fc, v32
	v_mov_b32_e32 v1, v33
	v_lshl_add_u64 v[0:1], v[0:1], 3, v[216:217]
	s_waitcnt lgkmcnt(0)
	global_store_dwordx2 v[0:1], v[4:5], off
	v_add_u32_e32 v0, 0x4a6, v32
	v_mov_b32_e32 v1, v33
	v_lshl_add_u64 v[4:5], v[0:1], 3, v[216:217]
	v_add_u32_e32 v0, 0x2800, v8
	ds_read2_b64 v[0:3], v0 offset0:80 offset1:250
	global_store_dwordx2 v[4:5], v[6:7], off
	v_add_u32_e32 v4, 0x550, v32
	v_mov_b32_e32 v5, v33
	v_lshl_add_u64 v[4:5], v[4:5], 3, v[216:217]
	v_add_u32_e32 v32, 0x5fa, v32
	s_waitcnt lgkmcnt(0)
	global_store_dwordx2 v[4:5], v[0:1], off
	v_lshl_add_u64 v[0:1], v[32:33], 3, v[216:217]
	global_store_dwordx2 v[0:1], v[2:3], off
.LBB0_21:
	s_endpgm
	.section	.rodata,"a",@progbits
	.p2align	6, 0x0
	.amdhsa_kernel fft_rtc_back_len1700_factors_17_10_10_wgs_170_tpt_170_halfLds_sp_ip_CI_unitstride_sbrr_C2R_dirReg
		.amdhsa_group_segment_fixed_size 0
		.amdhsa_private_segment_fixed_size 0
		.amdhsa_kernarg_size 88
		.amdhsa_user_sgpr_count 2
		.amdhsa_user_sgpr_dispatch_ptr 0
		.amdhsa_user_sgpr_queue_ptr 0
		.amdhsa_user_sgpr_kernarg_segment_ptr 1
		.amdhsa_user_sgpr_dispatch_id 0
		.amdhsa_user_sgpr_kernarg_preload_length 0
		.amdhsa_user_sgpr_kernarg_preload_offset 0
		.amdhsa_user_sgpr_private_segment_size 0
		.amdhsa_uses_dynamic_stack 0
		.amdhsa_enable_private_segment 0
		.amdhsa_system_sgpr_workgroup_id_x 1
		.amdhsa_system_sgpr_workgroup_id_y 0
		.amdhsa_system_sgpr_workgroup_id_z 0
		.amdhsa_system_sgpr_workgroup_info 0
		.amdhsa_system_vgpr_workitem_id 0
		.amdhsa_next_free_vgpr 270
		.amdhsa_next_free_sgpr 52
		.amdhsa_accum_offset 256
		.amdhsa_reserve_vcc 1
		.amdhsa_float_round_mode_32 0
		.amdhsa_float_round_mode_16_64 0
		.amdhsa_float_denorm_mode_32 3
		.amdhsa_float_denorm_mode_16_64 3
		.amdhsa_dx10_clamp 1
		.amdhsa_ieee_mode 1
		.amdhsa_fp16_overflow 0
		.amdhsa_tg_split 0
		.amdhsa_exception_fp_ieee_invalid_op 0
		.amdhsa_exception_fp_denorm_src 0
		.amdhsa_exception_fp_ieee_div_zero 0
		.amdhsa_exception_fp_ieee_overflow 0
		.amdhsa_exception_fp_ieee_underflow 0
		.amdhsa_exception_fp_ieee_inexact 0
		.amdhsa_exception_int_div_zero 0
	.end_amdhsa_kernel
	.text
.Lfunc_end0:
	.size	fft_rtc_back_len1700_factors_17_10_10_wgs_170_tpt_170_halfLds_sp_ip_CI_unitstride_sbrr_C2R_dirReg, .Lfunc_end0-fft_rtc_back_len1700_factors_17_10_10_wgs_170_tpt_170_halfLds_sp_ip_CI_unitstride_sbrr_C2R_dirReg
                                        ; -- End function
	.section	.AMDGPU.csdata,"",@progbits
; Kernel info:
; codeLenInByte = 9488
; NumSgprs: 58
; NumVgprs: 256
; NumAgprs: 14
; TotalNumVgprs: 270
; ScratchSize: 0
; MemoryBound: 0
; FloatMode: 240
; IeeeMode: 1
; LDSByteSize: 0 bytes/workgroup (compile time only)
; SGPRBlocks: 7
; VGPRBlocks: 33
; NumSGPRsForWavesPerEU: 58
; NumVGPRsForWavesPerEU: 270
; AccumOffset: 256
; Occupancy: 1
; WaveLimiterHint : 1
; COMPUTE_PGM_RSRC2:SCRATCH_EN: 0
; COMPUTE_PGM_RSRC2:USER_SGPR: 2
; COMPUTE_PGM_RSRC2:TRAP_HANDLER: 0
; COMPUTE_PGM_RSRC2:TGID_X_EN: 1
; COMPUTE_PGM_RSRC2:TGID_Y_EN: 0
; COMPUTE_PGM_RSRC2:TGID_Z_EN: 0
; COMPUTE_PGM_RSRC2:TIDIG_COMP_CNT: 0
; COMPUTE_PGM_RSRC3_GFX90A:ACCUM_OFFSET: 63
; COMPUTE_PGM_RSRC3_GFX90A:TG_SPLIT: 0
	.text
	.p2alignl 6, 3212836864
	.fill 256, 4, 3212836864
	.type	__hip_cuid_39edae373e568216,@object ; @__hip_cuid_39edae373e568216
	.section	.bss,"aw",@nobits
	.globl	__hip_cuid_39edae373e568216
__hip_cuid_39edae373e568216:
	.byte	0                               ; 0x0
	.size	__hip_cuid_39edae373e568216, 1

	.ident	"AMD clang version 19.0.0git (https://github.com/RadeonOpenCompute/llvm-project roc-6.4.0 25133 c7fe45cf4b819c5991fe208aaa96edf142730f1d)"
	.section	".note.GNU-stack","",@progbits
	.addrsig
	.addrsig_sym __hip_cuid_39edae373e568216
	.amdgpu_metadata
---
amdhsa.kernels:
  - .agpr_count:     14
    .args:
      - .actual_access:  read_only
        .address_space:  global
        .offset:         0
        .size:           8
        .value_kind:     global_buffer
      - .offset:         8
        .size:           8
        .value_kind:     by_value
      - .actual_access:  read_only
        .address_space:  global
        .offset:         16
        .size:           8
        .value_kind:     global_buffer
      - .actual_access:  read_only
        .address_space:  global
        .offset:         24
        .size:           8
        .value_kind:     global_buffer
      - .offset:         32
        .size:           8
        .value_kind:     by_value
      - .actual_access:  read_only
        .address_space:  global
        .offset:         40
        .size:           8
        .value_kind:     global_buffer
      - .actual_access:  read_only
        .address_space:  global
        .offset:         48
        .size:           8
        .value_kind:     global_buffer
      - .offset:         56
        .size:           4
        .value_kind:     by_value
      - .actual_access:  read_only
        .address_space:  global
        .offset:         64
        .size:           8
        .value_kind:     global_buffer
      - .actual_access:  read_only
        .address_space:  global
        .offset:         72
        .size:           8
        .value_kind:     global_buffer
      - .address_space:  global
        .offset:         80
        .size:           8
        .value_kind:     global_buffer
    .group_segment_fixed_size: 0
    .kernarg_segment_align: 8
    .kernarg_segment_size: 88
    .language:       OpenCL C
    .language_version:
      - 2
      - 0
    .max_flat_workgroup_size: 170
    .name:           fft_rtc_back_len1700_factors_17_10_10_wgs_170_tpt_170_halfLds_sp_ip_CI_unitstride_sbrr_C2R_dirReg
    .private_segment_fixed_size: 0
    .sgpr_count:     58
    .sgpr_spill_count: 0
    .symbol:         fft_rtc_back_len1700_factors_17_10_10_wgs_170_tpt_170_halfLds_sp_ip_CI_unitstride_sbrr_C2R_dirReg.kd
    .uniform_work_group_size: 1
    .uses_dynamic_stack: false
    .vgpr_count:     270
    .vgpr_spill_count: 0
    .wavefront_size: 64
amdhsa.target:   amdgcn-amd-amdhsa--gfx950
amdhsa.version:
  - 1
  - 2
...

	.end_amdgpu_metadata
